;; amdgpu-corpus repo=ROCm/rocSPARSE kind=compiled arch=gfx1250 opt=O3
	.amdgcn_target "amdgcn-amd-amdhsa--gfx1250"
	.amdhsa_code_object_version 6
	.section	.text._ZN9rocsparseL23nnz_total_device_kernelEiPKiPi,"axG",@progbits,_ZN9rocsparseL23nnz_total_device_kernelEiPKiPi,comdat
	.globl	_ZN9rocsparseL23nnz_total_device_kernelEiPKiPi ; -- Begin function _ZN9rocsparseL23nnz_total_device_kernelEiPKiPi
	.p2align	8
	.type	_ZN9rocsparseL23nnz_total_device_kernelEiPKiPi,@function
_ZN9rocsparseL23nnz_total_device_kernelEiPKiPi: ; @_ZN9rocsparseL23nnz_total_device_kernelEiPKiPi
; %bb.0:
	s_cmp_lg_u32 0, 0
	s_cbranch_scc0 .LBB0_2
; %bb.1:
	s_endpgm
.LBB0_2:
	s_clause 0x1
	s_load_b32 s2, s[0:1], 0x0
	s_load_b128 s[4:7], s[0:1], 0x8
	s_wait_kmcnt 0x0
	s_ashr_i32 s3, s2, 31
	s_delay_alu instid0(SALU_CYCLE_1) | instskip(NEXT) | instid1(SALU_CYCLE_1)
	s_lshl_b64 s[0:1], s[2:3], 2
	s_add_nc_u64 s[0:1], s[4:5], s[0:1]
	s_clause 0x1
	s_load_b32 s2, s[0:1], 0x0
	s_load_b32 s3, s[4:5], 0x0
	s_wait_kmcnt 0x0
	s_sub_co_i32 s0, s2, s3
	s_delay_alu instid0(SALU_CYCLE_1)
	v_dual_mov_b32 v0, 0 :: v_dual_mov_b32 v1, s0
	global_store_b32 v0, v1, s[6:7]
	s_endpgm
	.section	.rodata,"a",@progbits
	.p2align	6, 0x0
	.amdhsa_kernel _ZN9rocsparseL23nnz_total_device_kernelEiPKiPi
		.amdhsa_group_segment_fixed_size 0
		.amdhsa_private_segment_fixed_size 0
		.amdhsa_kernarg_size 24
		.amdhsa_user_sgpr_count 2
		.amdhsa_user_sgpr_dispatch_ptr 0
		.amdhsa_user_sgpr_queue_ptr 0
		.amdhsa_user_sgpr_kernarg_segment_ptr 1
		.amdhsa_user_sgpr_dispatch_id 0
		.amdhsa_user_sgpr_kernarg_preload_length 0
		.amdhsa_user_sgpr_kernarg_preload_offset 0
		.amdhsa_user_sgpr_private_segment_size 0
		.amdhsa_wavefront_size32 1
		.amdhsa_uses_dynamic_stack 0
		.amdhsa_enable_private_segment 0
		.amdhsa_system_sgpr_workgroup_id_x 1
		.amdhsa_system_sgpr_workgroup_id_y 0
		.amdhsa_system_sgpr_workgroup_id_z 0
		.amdhsa_system_sgpr_workgroup_info 0
		.amdhsa_system_vgpr_workitem_id 0
		.amdhsa_next_free_vgpr 2
		.amdhsa_next_free_sgpr 8
		.amdhsa_named_barrier_count 0
		.amdhsa_reserve_vcc 0
		.amdhsa_float_round_mode_32 0
		.amdhsa_float_round_mode_16_64 0
		.amdhsa_float_denorm_mode_32 3
		.amdhsa_float_denorm_mode_16_64 3
		.amdhsa_fp16_overflow 0
		.amdhsa_memory_ordered 1
		.amdhsa_forward_progress 1
		.amdhsa_inst_pref_size 1
		.amdhsa_round_robin_scheduling 0
		.amdhsa_exception_fp_ieee_invalid_op 0
		.amdhsa_exception_fp_denorm_src 0
		.amdhsa_exception_fp_ieee_div_zero 0
		.amdhsa_exception_fp_ieee_overflow 0
		.amdhsa_exception_fp_ieee_underflow 0
		.amdhsa_exception_fp_ieee_inexact 0
		.amdhsa_exception_int_div_zero 0
	.end_amdhsa_kernel
	.section	.text._ZN9rocsparseL23nnz_total_device_kernelEiPKiPi,"axG",@progbits,_ZN9rocsparseL23nnz_total_device_kernelEiPKiPi,comdat
.Lfunc_end0:
	.size	_ZN9rocsparseL23nnz_total_device_kernelEiPKiPi, .Lfunc_end0-_ZN9rocsparseL23nnz_total_device_kernelEiPKiPi
                                        ; -- End function
	.set _ZN9rocsparseL23nnz_total_device_kernelEiPKiPi.num_vgpr, 2
	.set _ZN9rocsparseL23nnz_total_device_kernelEiPKiPi.num_agpr, 0
	.set _ZN9rocsparseL23nnz_total_device_kernelEiPKiPi.numbered_sgpr, 8
	.set _ZN9rocsparseL23nnz_total_device_kernelEiPKiPi.num_named_barrier, 0
	.set _ZN9rocsparseL23nnz_total_device_kernelEiPKiPi.private_seg_size, 0
	.set _ZN9rocsparseL23nnz_total_device_kernelEiPKiPi.uses_vcc, 0
	.set _ZN9rocsparseL23nnz_total_device_kernelEiPKiPi.uses_flat_scratch, 0
	.set _ZN9rocsparseL23nnz_total_device_kernelEiPKiPi.has_dyn_sized_stack, 0
	.set _ZN9rocsparseL23nnz_total_device_kernelEiPKiPi.has_recursion, 0
	.set _ZN9rocsparseL23nnz_total_device_kernelEiPKiPi.has_indirect_call, 0
	.section	.AMDGPU.csdata,"",@progbits
; Kernel info:
; codeLenInByte = 108
; TotalNumSgprs: 8
; NumVgprs: 2
; ScratchSize: 0
; MemoryBound: 0
; FloatMode: 240
; IeeeMode: 1
; LDSByteSize: 0 bytes/workgroup (compile time only)
; SGPRBlocks: 0
; VGPRBlocks: 0
; NumSGPRsForWavesPerEU: 8
; NumVGPRsForWavesPerEU: 2
; NamedBarCnt: 0
; Occupancy: 16
; WaveLimiterHint : 0
; COMPUTE_PGM_RSRC2:SCRATCH_EN: 0
; COMPUTE_PGM_RSRC2:USER_SGPR: 2
; COMPUTE_PGM_RSRC2:TRAP_HANDLER: 0
; COMPUTE_PGM_RSRC2:TGID_X_EN: 1
; COMPUTE_PGM_RSRC2:TGID_Y_EN: 0
; COMPUTE_PGM_RSRC2:TGID_Z_EN: 0
; COMPUTE_PGM_RSRC2:TIDIG_COMP_CNT: 0
	.section	.text._ZN9rocsparseL26prune_dense2csr_nnz_kernelILi64ELi16EfEEviiPKT1_lNS_24const_host_device_scalarIS1_EEPib,"axG",@progbits,_ZN9rocsparseL26prune_dense2csr_nnz_kernelILi64ELi16EfEEviiPKT1_lNS_24const_host_device_scalarIS1_EEPib,comdat
	.globl	_ZN9rocsparseL26prune_dense2csr_nnz_kernelILi64ELi16EfEEviiPKT1_lNS_24const_host_device_scalarIS1_EEPib ; -- Begin function _ZN9rocsparseL26prune_dense2csr_nnz_kernelILi64ELi16EfEEviiPKT1_lNS_24const_host_device_scalarIS1_EEPib
	.p2align	8
	.type	_ZN9rocsparseL26prune_dense2csr_nnz_kernelILi64ELi16EfEEviiPKT1_lNS_24const_host_device_scalarIS1_EEPib,@function
_ZN9rocsparseL26prune_dense2csr_nnz_kernelILi64ELi16EfEEviiPKT1_lNS_24const_host_device_scalarIS1_EEPib: ; @_ZN9rocsparseL26prune_dense2csr_nnz_kernelILi64ELi16EfEEviiPKT1_lNS_24const_host_device_scalarIS1_EEPib
; %bb.0:
	s_clause 0x1
	s_load_b32 s2, s[0:1], 0x28
	s_load_b128 s[8:11], s[0:1], 0x10
	s_wait_kmcnt 0x0
	s_bitcmp1_b32 s2, 0
	s_cselect_b32 s2, -1, 0
	s_delay_alu instid0(SALU_CYCLE_1)
	s_and_b32 vcc_lo, exec_lo, s2
	s_cbranch_vccnz .LBB1_2
; %bb.1:
	s_load_b32 s10, s[10:11], 0x0
.LBB1_2:
	s_clause 0x2
	s_load_b32 s2, s[0:1], 0x3c
	s_load_b128 s[4:7], s[0:1], 0x0
	s_load_b64 s[12:13], s[0:1], 0x20
	v_and_b32_e32 v1, 0x3ff, v0
	v_bfe_u32 v2, v0, 10, 10
	s_wait_xcnt 0x0
	s_bfe_u32 s1, ttmp6, 0x4000c
	s_and_b32 s0, ttmp6, 15
	s_add_co_i32 s1, s1, 1
	s_getreg_b32 s3, hwreg(HW_REG_IB_STS2, 6, 4)
	s_mul_i32 s1, ttmp9, s1
	s_mov_b32 s18, 0
	s_add_co_i32 s0, s0, s1
	s_mov_b32 s17, exec_lo
	s_wait_kmcnt 0x0
	s_and_b32 s2, s2, 0xffff
	s_cmp_eq_u32 s3, 0
	v_mad_u32_u24 v26, v2, s2, v1
	v_mov_b32_e32 v0, 0
	s_cselect_b32 s0, ttmp9, s0
	s_ashr_i32 s1, s5, 31
	s_lshl_b32 s11, s0, 8
	s_delay_alu instid0(VALU_DEP_1) | instskip(SKIP_2) | instid1(SALU_CYCLE_1)
	v_dual_mov_b32 v1, v0 :: v_dual_lshrrev_b32 v2, 4, v26
	v_and_b32_e32 v27, 63, v26
	s_lshr_b32 s1, s1, 26
	s_add_co_i32 s16, s5, s1
	s_delay_alu instid0(VALU_DEP_2) | instskip(NEXT) | instid1(VALU_DEP_2)
	v_and_b32_e32 v4, 0x7ffffc, v2
	v_dual_mov_b32 v2, v0 :: v_dual_bitop2_b32 v6, s11, v27 bitop3:0x54
	v_mov_b32_e32 v3, v0
	s_and_not1_b32 s16, s16, 63
	s_delay_alu instid0(VALU_DEP_2)
	v_or_b32_e32 v30, 64, v6
	v_or_b32_e32 v29, 0x80, v6
	v_or_b32_e32 v28, 0xc0, v6
	v_cmpx_gt_i32_e64 s16, v4
	s_cbranch_execz .LBB1_14
; %bb.3:
	v_dual_mov_b32 v3, v0 :: v_dual_lshrrev_b32 v2, 6, v26
	v_cmp_gt_i32_e64 s0, s4, v30
	v_cmp_gt_i32_e64 s1, s4, v29
	;; [unrolled: 1-line block ×3, first 2 shown]
	s_delay_alu instid0(VALU_DEP_4) | instskip(SKIP_2) | instid1(VALU_DEP_3)
	v_dual_lshlrev_b32 v1, 2, v2 :: v_dual_mov_b32 v9, v0
	v_mov_b32_e32 v11, v0
	v_mul_u64_e32 v[12:13], s[8:9], v[2:3]
	v_dual_mov_b32 v2, v0 :: v_dual_bitop2_b32 v8, 2, v1 bitop3:0x54
	v_or_b32_e32 v10, 3, v1
	s_lshl_b64 s[14:15], s[8:9], 8
	v_cmp_gt_i32_e32 vcc_lo, s4, v6
	s_delay_alu instid0(VALU_DEP_3) | instskip(SKIP_3) | instid1(VALU_DEP_3)
	v_mul_u64_e32 v[14:15], s[8:9], v[8:9]
	v_add_nc_u32_e32 v8, s11, v27
	v_mul_u64_e32 v[16:17], s[8:9], v[10:11]
	v_mad_nc_u64_u32 v[10:11], s8, v1, s[8:9]
	v_ashrrev_i32_e32 v9, 31, v8
	s_delay_alu instid0(VALU_DEP_2) | instskip(SKIP_1) | instid1(VALU_DEP_3)
	v_mad_u32 v11, s9, v1, v11
	v_mov_b32_e32 v1, v0
	v_lshlrev_b64_e32 v[8:9], 2, v[8:9]
	s_delay_alu instid0(VALU_DEP_3)
	v_lshl_add_u64 v[10:11], v[10:11], 2, s[6:7]
	v_lshl_add_u64 v[12:13], v[12:13], 4, s[6:7]
	;; [unrolled: 1-line block ×4, first 2 shown]
	s_branch .LBB1_5
.LBB1_4:                                ;   in Loop: Header=BB1_5 Depth=1
	s_or_b32 exec_lo, exec_lo, s19
	v_add_nc_u32_e32 v4, 64, v4
	v_add_nc_u64_e32 v[14:15], s[14:15], v[14:15]
	v_add_nc_u64_e32 v[16:17], s[14:15], v[16:17]
	;; [unrolled: 1-line block ×4, first 2 shown]
	v_cmp_le_i32_e64 s3, s16, v4
	s_or_b32 s18, s3, s18
	s_delay_alu instid0(SALU_CYCLE_1)
	s_and_not1_b32 exec_lo, exec_lo, s18
	s_cbranch_execz .LBB1_13
.LBB1_5:                                ; =>This Inner Loop Header: Depth=1
	s_delay_alu instid0(VALU_DEP_3)
	v_add_nc_u64_e32 v[22:23], v[12:13], v[8:9]
	v_add_nc_u64_e32 v[18:19], v[10:11], v[8:9]
	;; [unrolled: 1-line block ×4, first 2 shown]
	s_and_saveexec_b32 s19, vcc_lo
	s_cbranch_execnz .LBB1_9
; %bb.6:                                ;   in Loop: Header=BB1_5 Depth=1
	s_or_b32 exec_lo, exec_lo, s19
	s_and_saveexec_b32 s19, s0
	s_cbranch_execnz .LBB1_10
.LBB1_7:                                ;   in Loop: Header=BB1_5 Depth=1
	s_or_b32 exec_lo, exec_lo, s19
	s_and_saveexec_b32 s19, s1
	s_cbranch_execnz .LBB1_11
.LBB1_8:                                ;   in Loop: Header=BB1_5 Depth=1
	s_or_b32 exec_lo, exec_lo, s19
	s_and_saveexec_b32 s19, s2
	s_cbranch_execz .LBB1_4
	s_branch .LBB1_12
.LBB1_9:                                ;   in Loop: Header=BB1_5 Depth=1
	global_load_b32 v5, v[22:23], off
	global_load_b32 v7, v[18:19], off
	;; [unrolled: 1-line block ×4, first 2 shown]
	s_wait_loadcnt 0x3
	v_cmp_gt_f32_e64 s3, |v5|, s10
	s_delay_alu instid0(VALU_DEP_1) | instskip(SKIP_2) | instid1(VALU_DEP_1)
	v_cndmask_b32_e64 v5, 0, 1, s3
	s_wait_loadcnt 0x2
	v_cmp_gt_f32_e64 s3, |v7|, s10
	v_add_co_ci_u32_e64 v0, null, v0, v5, s3
	s_wait_loadcnt 0x1
	v_cmp_gt_f32_e64 s3, |v31|, s10
	s_delay_alu instid0(VALU_DEP_1) | instskip(SKIP_2) | instid1(VALU_DEP_1)
	v_cndmask_b32_e64 v5, 0, 1, s3
	s_wait_loadcnt 0x0
	v_cmp_gt_f32_e64 s3, |v32|, s10
	v_add_co_ci_u32_e64 v0, null, v0, v5, s3
	s_or_b32 exec_lo, exec_lo, s19
	s_and_saveexec_b32 s19, s0
	s_cbranch_execz .LBB1_7
.LBB1_10:                               ;   in Loop: Header=BB1_5 Depth=1
	global_load_b32 v5, v[22:23], off offset:256
	global_load_b32 v7, v[18:19], off offset:256
	;; [unrolled: 1-line block ×4, first 2 shown]
	s_wait_loadcnt 0x3
	v_cmp_gt_f32_e64 s3, |v5|, s10
	s_delay_alu instid0(VALU_DEP_1) | instskip(SKIP_2) | instid1(VALU_DEP_1)
	v_cndmask_b32_e64 v5, 0, 1, s3
	s_wait_loadcnt 0x2
	v_cmp_gt_f32_e64 s3, |v7|, s10
	v_add_co_ci_u32_e64 v1, null, v1, v5, s3
	s_wait_loadcnt 0x1
	v_cmp_gt_f32_e64 s3, |v31|, s10
	s_delay_alu instid0(VALU_DEP_1) | instskip(SKIP_2) | instid1(VALU_DEP_1)
	v_cndmask_b32_e64 v5, 0, 1, s3
	s_wait_loadcnt 0x0
	v_cmp_gt_f32_e64 s3, |v32|, s10
	v_add_co_ci_u32_e64 v1, null, v1, v5, s3
	s_or_b32 exec_lo, exec_lo, s19
	s_and_saveexec_b32 s19, s1
	s_cbranch_execz .LBB1_8
.LBB1_11:                               ;   in Loop: Header=BB1_5 Depth=1
	global_load_b32 v5, v[22:23], off offset:512
	global_load_b32 v7, v[18:19], off offset:512
	;; [unrolled: 1-line block ×4, first 2 shown]
	s_wait_loadcnt 0x3
	v_cmp_gt_f32_e64 s3, |v5|, s10
	s_delay_alu instid0(VALU_DEP_1) | instskip(SKIP_2) | instid1(VALU_DEP_1)
	v_cndmask_b32_e64 v5, 0, 1, s3
	s_wait_loadcnt 0x2
	v_cmp_gt_f32_e64 s3, |v7|, s10
	v_add_co_ci_u32_e64 v2, null, v2, v5, s3
	s_wait_loadcnt 0x1
	v_cmp_gt_f32_e64 s3, |v31|, s10
	s_delay_alu instid0(VALU_DEP_1) | instskip(SKIP_2) | instid1(VALU_DEP_1)
	v_cndmask_b32_e64 v5, 0, 1, s3
	s_wait_loadcnt 0x0
	v_cmp_gt_f32_e64 s3, |v32|, s10
	v_add_co_ci_u32_e64 v2, null, v2, v5, s3
	s_or_b32 exec_lo, exec_lo, s19
	s_and_saveexec_b32 s19, s2
	s_cbranch_execz .LBB1_4
.LBB1_12:                               ;   in Loop: Header=BB1_5 Depth=1
	global_load_b32 v5, v[22:23], off offset:768
	global_load_b32 v7, v[18:19], off offset:768
	;; [unrolled: 1-line block ×4, first 2 shown]
	s_wait_loadcnt 0x3
	v_cmp_gt_f32_e64 s3, |v5|, s10
	s_delay_alu instid0(VALU_DEP_1) | instskip(SKIP_2) | instid1(VALU_DEP_1)
	v_cndmask_b32_e64 v5, 0, 1, s3
	s_wait_loadcnt 0x2
	v_cmp_gt_f32_e64 s3, |v7|, s10
	v_add_co_ci_u32_e64 v3, null, v3, v5, s3
	s_wait_loadcnt 0x1
	v_cmp_gt_f32_e64 s3, |v31|, s10
	s_delay_alu instid0(VALU_DEP_1) | instskip(SKIP_2) | instid1(VALU_DEP_1)
	v_cndmask_b32_e64 v5, 0, 1, s3
	s_wait_loadcnt 0x0
	v_cmp_gt_f32_e64 s3, |v32|, s10
	v_add_co_ci_u32_e64 v3, null, v3, v5, s3
	s_branch .LBB1_4
.LBB1_13:
	s_or_b32 exec_lo, exec_lo, s18
.LBB1_14:
	s_delay_alu instid0(SALU_CYCLE_1) | instskip(SKIP_1) | instid1(SALU_CYCLE_1)
	s_or_b32 exec_lo, exec_lo, s17
	s_sub_co_i32 s0, s5, s16
	s_cmp_lt_i32 s0, 1
	s_cbranch_scc1 .LBB1_56
; %bb.15:
	v_ashrrev_i32_e32 v7, 31, v6
	s_mov_b32 s0, exec_lo
	v_cmpx_gt_i32_e64 s4, v6
	s_cbranch_execnz .LBB1_19
; %bb.16:
	s_or_b32 exec_lo, exec_lo, s0
	s_delay_alu instid0(SALU_CYCLE_1)
	s_mov_b32 s0, exec_lo
	v_cmpx_gt_i32_e64 s4, v30
	s_cbranch_execnz .LBB1_28
.LBB1_17:
	s_or_b32 exec_lo, exec_lo, s0
	s_delay_alu instid0(SALU_CYCLE_1)
	s_mov_b32 s0, exec_lo
	v_cmpx_gt_i32_e64 s4, v29
	s_cbranch_execnz .LBB1_37
.LBB1_18:
	s_or_b32 exec_lo, exec_lo, s0
	s_delay_alu instid0(SALU_CYCLE_1)
	s_mov_b32 s0, exec_lo
	v_cmpx_gt_i32_e64 s4, v28
	s_cbranch_execnz .LBB1_46
	s_branch .LBB1_55
.LBB1_19:
	s_delay_alu instid0(VALU_DEP_2)
	v_lshl_add_u64 v[8:9], v[6:7], 2, s[6:7]
	s_mov_b32 s1, exec_lo
	v_cmpx_gt_i32_e64 s5, v4
	s_cbranch_execz .LBB1_21
; %bb.20:
	v_mov_b32_e32 v5, 0
	s_delay_alu instid0(VALU_DEP_1) | instskip(NEXT) | instid1(VALU_DEP_1)
	v_mul_u64_e32 v[10:11], s[8:9], v[4:5]
	v_lshl_add_u64 v[10:11], v[10:11], 2, v[8:9]
	global_load_b32 v5, v[10:11], off
	s_wait_loadcnt 0x0
	v_cmp_gt_f32_e64 vcc_lo, |v5|, s10
	s_delay_alu instid0(VALU_DEP_1)
	v_add_co_ci_u32_e64 v0, null, 0, v0, vcc_lo
.LBB1_21:
	s_or_b32 exec_lo, exec_lo, s1
	v_or_b32_e32 v10, 1, v4
	s_mov_b32 s1, exec_lo
	s_delay_alu instid0(VALU_DEP_1)
	v_cmpx_gt_i32_e64 s5, v10
	s_cbranch_execz .LBB1_23
; %bb.22:
	v_mov_b32_e32 v11, 0
	s_delay_alu instid0(VALU_DEP_1) | instskip(NEXT) | instid1(VALU_DEP_1)
	v_mul_u64_e32 v[10:11], s[8:9], v[10:11]
	v_lshl_add_u64 v[10:11], v[10:11], 2, v[8:9]
	global_load_b32 v5, v[10:11], off
	s_wait_loadcnt 0x0
	v_cmp_gt_f32_e64 vcc_lo, |v5|, s10
	s_delay_alu instid0(VALU_DEP_1)
	v_add_co_ci_u32_e64 v0, null, 0, v0, vcc_lo
.LBB1_23:
	s_or_b32 exec_lo, exec_lo, s1
	v_or_b32_e32 v10, 2, v4
	s_mov_b32 s1, exec_lo
	s_delay_alu instid0(VALU_DEP_1)
	v_cmpx_gt_i32_e64 s5, v10
	s_cbranch_execz .LBB1_25
; %bb.24:
	v_mov_b32_e32 v11, 0
	s_delay_alu instid0(VALU_DEP_1) | instskip(NEXT) | instid1(VALU_DEP_1)
	v_mul_u64_e32 v[10:11], s[8:9], v[10:11]
	v_lshl_add_u64 v[10:11], v[10:11], 2, v[8:9]
	global_load_b32 v5, v[10:11], off
	s_wait_loadcnt 0x0
	v_cmp_gt_f32_e64 vcc_lo, |v5|, s10
	s_delay_alu instid0(VALU_DEP_1)
	v_add_co_ci_u32_e64 v0, null, 0, v0, vcc_lo
.LBB1_25:
	s_or_b32 exec_lo, exec_lo, s1
	v_or_b32_e32 v10, 3, v4
	s_mov_b32 s1, exec_lo
	s_delay_alu instid0(VALU_DEP_1)
	v_cmpx_gt_i32_e64 s5, v10
	s_cbranch_execz .LBB1_27
; %bb.26:
	v_mov_b32_e32 v11, 0
	s_delay_alu instid0(VALU_DEP_1) | instskip(NEXT) | instid1(VALU_DEP_1)
	v_mul_u64_e32 v[10:11], s[8:9], v[10:11]
	v_lshl_add_u64 v[8:9], v[10:11], 2, v[8:9]
	global_load_b32 v5, v[8:9], off
	s_wait_loadcnt 0x0
	v_cmp_gt_f32_e64 vcc_lo, |v5|, s10
	s_delay_alu instid0(VALU_DEP_1)
	v_add_co_ci_u32_e64 v0, null, 0, v0, vcc_lo
.LBB1_27:
	s_or_b32 exec_lo, exec_lo, s1
	s_delay_alu instid0(SALU_CYCLE_1) | instskip(NEXT) | instid1(SALU_CYCLE_1)
	s_or_b32 exec_lo, exec_lo, s0
	s_mov_b32 s0, exec_lo
	v_cmpx_gt_i32_e64 s4, v30
	s_cbranch_execz .LBB1_17
.LBB1_28:
	v_lshl_add_u64 v[8:9], v[6:7], 2, s[6:7]
	s_mov_b32 s1, exec_lo
	v_cmpx_gt_i32_e64 s5, v4
	s_cbranch_execz .LBB1_30
; %bb.29:
	v_mov_b32_e32 v5, 0
	s_delay_alu instid0(VALU_DEP_1) | instskip(NEXT) | instid1(VALU_DEP_1)
	v_mul_u64_e32 v[10:11], s[8:9], v[4:5]
	v_lshl_add_u64 v[10:11], v[10:11], 2, v[8:9]
	global_load_b32 v5, v[10:11], off offset:256
	s_wait_loadcnt 0x0
	v_cmp_gt_f32_e64 vcc_lo, |v5|, s10
	s_delay_alu instid0(VALU_DEP_1)
	v_add_co_ci_u32_e64 v1, null, 0, v1, vcc_lo
.LBB1_30:
	s_or_b32 exec_lo, exec_lo, s1
	v_or_b32_e32 v10, 1, v4
	s_mov_b32 s1, exec_lo
	s_delay_alu instid0(VALU_DEP_1)
	v_cmpx_gt_i32_e64 s5, v10
	s_cbranch_execz .LBB1_32
; %bb.31:
	v_mov_b32_e32 v11, 0
	s_delay_alu instid0(VALU_DEP_1) | instskip(NEXT) | instid1(VALU_DEP_1)
	v_mul_u64_e32 v[10:11], s[8:9], v[10:11]
	v_lshl_add_u64 v[10:11], v[10:11], 2, v[8:9]
	global_load_b32 v5, v[10:11], off offset:256
	s_wait_loadcnt 0x0
	v_cmp_gt_f32_e64 vcc_lo, |v5|, s10
	s_delay_alu instid0(VALU_DEP_1)
	v_add_co_ci_u32_e64 v1, null, 0, v1, vcc_lo
.LBB1_32:
	s_or_b32 exec_lo, exec_lo, s1
	v_or_b32_e32 v10, 2, v4
	s_mov_b32 s1, exec_lo
	s_delay_alu instid0(VALU_DEP_1)
	;; [unrolled: 17-line block ×3, first 2 shown]
	v_cmpx_gt_i32_e64 s5, v10
	s_cbranch_execz .LBB1_36
; %bb.35:
	v_mov_b32_e32 v11, 0
	s_delay_alu instid0(VALU_DEP_1) | instskip(NEXT) | instid1(VALU_DEP_1)
	v_mul_u64_e32 v[10:11], s[8:9], v[10:11]
	v_lshl_add_u64 v[8:9], v[10:11], 2, v[8:9]
	global_load_b32 v5, v[8:9], off offset:256
	s_wait_loadcnt 0x0
	v_cmp_gt_f32_e64 vcc_lo, |v5|, s10
	s_delay_alu instid0(VALU_DEP_1)
	v_add_co_ci_u32_e64 v1, null, 0, v1, vcc_lo
.LBB1_36:
	s_or_b32 exec_lo, exec_lo, s1
	s_delay_alu instid0(SALU_CYCLE_1) | instskip(NEXT) | instid1(SALU_CYCLE_1)
	s_or_b32 exec_lo, exec_lo, s0
	s_mov_b32 s0, exec_lo
	v_cmpx_gt_i32_e64 s4, v29
	s_cbranch_execz .LBB1_18
.LBB1_37:
	v_lshl_add_u64 v[8:9], v[6:7], 2, s[6:7]
	s_mov_b32 s1, exec_lo
	v_cmpx_gt_i32_e64 s5, v4
	s_cbranch_execz .LBB1_39
; %bb.38:
	v_mov_b32_e32 v5, 0
	s_delay_alu instid0(VALU_DEP_1) | instskip(NEXT) | instid1(VALU_DEP_1)
	v_mul_u64_e32 v[10:11], s[8:9], v[4:5]
	v_lshl_add_u64 v[10:11], v[10:11], 2, v[8:9]
	global_load_b32 v5, v[10:11], off offset:512
	s_wait_loadcnt 0x0
	v_cmp_gt_f32_e64 vcc_lo, |v5|, s10
	s_delay_alu instid0(VALU_DEP_1)
	v_add_co_ci_u32_e64 v2, null, 0, v2, vcc_lo
.LBB1_39:
	s_or_b32 exec_lo, exec_lo, s1
	v_or_b32_e32 v10, 1, v4
	s_mov_b32 s1, exec_lo
	s_delay_alu instid0(VALU_DEP_1)
	v_cmpx_gt_i32_e64 s5, v10
	s_cbranch_execz .LBB1_41
; %bb.40:
	v_mov_b32_e32 v11, 0
	s_delay_alu instid0(VALU_DEP_1) | instskip(NEXT) | instid1(VALU_DEP_1)
	v_mul_u64_e32 v[10:11], s[8:9], v[10:11]
	v_lshl_add_u64 v[10:11], v[10:11], 2, v[8:9]
	global_load_b32 v5, v[10:11], off offset:512
	s_wait_loadcnt 0x0
	v_cmp_gt_f32_e64 vcc_lo, |v5|, s10
	s_delay_alu instid0(VALU_DEP_1)
	v_add_co_ci_u32_e64 v2, null, 0, v2, vcc_lo
.LBB1_41:
	s_or_b32 exec_lo, exec_lo, s1
	v_or_b32_e32 v10, 2, v4
	s_mov_b32 s1, exec_lo
	s_delay_alu instid0(VALU_DEP_1)
	;; [unrolled: 17-line block ×3, first 2 shown]
	v_cmpx_gt_i32_e64 s5, v10
	s_cbranch_execz .LBB1_45
; %bb.44:
	v_mov_b32_e32 v11, 0
	s_delay_alu instid0(VALU_DEP_1) | instskip(NEXT) | instid1(VALU_DEP_1)
	v_mul_u64_e32 v[10:11], s[8:9], v[10:11]
	v_lshl_add_u64 v[8:9], v[10:11], 2, v[8:9]
	global_load_b32 v5, v[8:9], off offset:512
	s_wait_loadcnt 0x0
	v_cmp_gt_f32_e64 vcc_lo, |v5|, s10
	s_delay_alu instid0(VALU_DEP_1)
	v_add_co_ci_u32_e64 v2, null, 0, v2, vcc_lo
.LBB1_45:
	s_or_b32 exec_lo, exec_lo, s1
	s_delay_alu instid0(SALU_CYCLE_1) | instskip(NEXT) | instid1(SALU_CYCLE_1)
	s_or_b32 exec_lo, exec_lo, s0
	s_mov_b32 s0, exec_lo
	v_cmpx_gt_i32_e64 s4, v28
	s_cbranch_execz .LBB1_55
.LBB1_46:
	v_lshl_add_u64 v[6:7], v[6:7], 2, s[6:7]
	s_mov_b32 s1, exec_lo
	v_cmpx_gt_i32_e64 s5, v4
	s_cbranch_execz .LBB1_48
; %bb.47:
	v_mov_b32_e32 v5, 0
	s_delay_alu instid0(VALU_DEP_1) | instskip(NEXT) | instid1(VALU_DEP_1)
	v_mul_u64_e32 v[8:9], s[8:9], v[4:5]
	v_lshl_add_u64 v[8:9], v[8:9], 2, v[6:7]
	global_load_b32 v5, v[8:9], off offset:768
	s_wait_loadcnt 0x0
	v_cmp_gt_f32_e64 vcc_lo, |v5|, s10
	s_delay_alu instid0(VALU_DEP_1)
	v_add_co_ci_u32_e64 v3, null, 0, v3, vcc_lo
.LBB1_48:
	s_or_b32 exec_lo, exec_lo, s1
	v_or_b32_e32 v8, 1, v4
	s_mov_b32 s1, exec_lo
	s_delay_alu instid0(VALU_DEP_1)
	v_cmpx_gt_i32_e64 s5, v8
	s_cbranch_execz .LBB1_50
; %bb.49:
	v_mov_b32_e32 v9, 0
	s_delay_alu instid0(VALU_DEP_1) | instskip(NEXT) | instid1(VALU_DEP_1)
	v_mul_u64_e32 v[8:9], s[8:9], v[8:9]
	v_lshl_add_u64 v[8:9], v[8:9], 2, v[6:7]
	global_load_b32 v5, v[8:9], off offset:768
	s_wait_loadcnt 0x0
	v_cmp_gt_f32_e64 vcc_lo, |v5|, s10
	s_delay_alu instid0(VALU_DEP_1)
	v_add_co_ci_u32_e64 v3, null, 0, v3, vcc_lo
.LBB1_50:
	s_or_b32 exec_lo, exec_lo, s1
	v_or_b32_e32 v8, 2, v4
	s_mov_b32 s1, exec_lo
	s_delay_alu instid0(VALU_DEP_1)
	;; [unrolled: 17-line block ×3, first 2 shown]
	v_cmpx_gt_i32_e64 s5, v4
	s_cbranch_execz .LBB1_54
; %bb.53:
	v_mov_b32_e32 v5, 0
	s_delay_alu instid0(VALU_DEP_1) | instskip(NEXT) | instid1(VALU_DEP_1)
	v_mul_u64_e32 v[4:5], s[8:9], v[4:5]
	v_lshl_add_u64 v[4:5], v[4:5], 2, v[6:7]
	global_load_b32 v4, v[4:5], off offset:768
	s_wait_loadcnt 0x0
	v_cmp_gt_f32_e64 vcc_lo, |v4|, s10
	s_delay_alu instid0(VALU_DEP_1)
	v_add_co_ci_u32_e64 v3, null, 0, v3, vcc_lo
.LBB1_54:
	s_or_b32 exec_lo, exec_lo, s1
.LBB1_55:
	s_delay_alu instid0(SALU_CYCLE_1)
	s_or_b32 exec_lo, exec_lo, s0
.LBB1_56:
	v_dual_lshlrev_b32 v4, 4, v26 :: v_dual_lshlrev_b32 v5, 2, v27
	s_mov_b32 s0, exec_lo
	s_delay_alu instid0(VALU_DEP_1)
	v_and_or_b32 v4, 0x7ffffc00, v4, v5
	ds_store_2addr_stride64_b32 v4, v0, v1 offset1:1
	ds_store_2addr_stride64_b32 v4, v2, v3 offset0:2 offset1:3
	s_wait_dscnt 0x0
	s_barrier_signal -1
	s_barrier_wait -1
	v_cmpx_gt_u32_e32 0x100, v26
	s_cbranch_execz .LBB1_59
; %bb.57:
	v_lshlrev_b32_e32 v8, 2, v26
	ds_load_2addr_stride64_b32 v[0:1], v8 offset1:4
	ds_load_2addr_stride64_b32 v[2:3], v8 offset0:8 offset1:12
	ds_load_2addr_stride64_b32 v[4:5], v8 offset0:16 offset1:20
	ds_load_2addr_stride64_b32 v[6:7], v8 offset0:24 offset1:28
	s_wait_dscnt 0x3
	v_add_nc_u32_e32 v9, v1, v0
	ds_load_2addr_stride64_b32 v[0:1], v8 offset0:32 offset1:36
	s_wait_dscnt 0x3
	v_add3_u32 v9, v9, v2, v3
	ds_load_2addr_stride64_b32 v[2:3], v8 offset0:40 offset1:44
	s_wait_dscnt 0x3
	v_add3_u32 v9, v9, v4, v5
	;; [unrolled: 3-line block ×4, first 2 shown]
	s_wait_dscnt 0x2
	s_delay_alu instid0(VALU_DEP_1) | instskip(SKIP_1) | instid1(VALU_DEP_1)
	v_add3_u32 v0, v0, v2, v3
	s_wait_dscnt 0x1
	v_add3_u32 v1, v0, v4, v5
	v_or_b32_e32 v0, s11, v26
	s_wait_dscnt 0x0
	s_delay_alu instid0(VALU_DEP_2) | instskip(NEXT) | instid1(VALU_DEP_2)
	v_add3_u32 v1, v1, v6, v7
	v_cmp_gt_i32_e32 vcc_lo, s4, v0
	ds_store_b32 v8, v1
	s_and_b32 exec_lo, exec_lo, vcc_lo
	s_cbranch_execz .LBB1_59
; %bb.58:
	global_store_b32 v0, v1, s[12:13] scale_offset
.LBB1_59:
	s_endpgm
	.section	.rodata,"a",@progbits
	.p2align	6, 0x0
	.amdhsa_kernel _ZN9rocsparseL26prune_dense2csr_nnz_kernelILi64ELi16EfEEviiPKT1_lNS_24const_host_device_scalarIS1_EEPib
		.amdhsa_group_segment_fixed_size 16384
		.amdhsa_private_segment_fixed_size 0
		.amdhsa_kernarg_size 304
		.amdhsa_user_sgpr_count 2
		.amdhsa_user_sgpr_dispatch_ptr 0
		.amdhsa_user_sgpr_queue_ptr 0
		.amdhsa_user_sgpr_kernarg_segment_ptr 1
		.amdhsa_user_sgpr_dispatch_id 0
		.amdhsa_user_sgpr_kernarg_preload_length 0
		.amdhsa_user_sgpr_kernarg_preload_offset 0
		.amdhsa_user_sgpr_private_segment_size 0
		.amdhsa_wavefront_size32 1
		.amdhsa_uses_dynamic_stack 0
		.amdhsa_enable_private_segment 0
		.amdhsa_system_sgpr_workgroup_id_x 1
		.amdhsa_system_sgpr_workgroup_id_y 0
		.amdhsa_system_sgpr_workgroup_id_z 0
		.amdhsa_system_sgpr_workgroup_info 0
		.amdhsa_system_vgpr_workitem_id 1
		.amdhsa_next_free_vgpr 33
		.amdhsa_next_free_sgpr 20
		.amdhsa_named_barrier_count 0
		.amdhsa_reserve_vcc 1
		.amdhsa_float_round_mode_32 0
		.amdhsa_float_round_mode_16_64 0
		.amdhsa_float_denorm_mode_32 3
		.amdhsa_float_denorm_mode_16_64 3
		.amdhsa_fp16_overflow 0
		.amdhsa_memory_ordered 1
		.amdhsa_forward_progress 1
		.amdhsa_inst_pref_size 24
		.amdhsa_round_robin_scheduling 0
		.amdhsa_exception_fp_ieee_invalid_op 0
		.amdhsa_exception_fp_denorm_src 0
		.amdhsa_exception_fp_ieee_div_zero 0
		.amdhsa_exception_fp_ieee_overflow 0
		.amdhsa_exception_fp_ieee_underflow 0
		.amdhsa_exception_fp_ieee_inexact 0
		.amdhsa_exception_int_div_zero 0
	.end_amdhsa_kernel
	.section	.text._ZN9rocsparseL26prune_dense2csr_nnz_kernelILi64ELi16EfEEviiPKT1_lNS_24const_host_device_scalarIS1_EEPib,"axG",@progbits,_ZN9rocsparseL26prune_dense2csr_nnz_kernelILi64ELi16EfEEviiPKT1_lNS_24const_host_device_scalarIS1_EEPib,comdat
.Lfunc_end1:
	.size	_ZN9rocsparseL26prune_dense2csr_nnz_kernelILi64ELi16EfEEviiPKT1_lNS_24const_host_device_scalarIS1_EEPib, .Lfunc_end1-_ZN9rocsparseL26prune_dense2csr_nnz_kernelILi64ELi16EfEEviiPKT1_lNS_24const_host_device_scalarIS1_EEPib
                                        ; -- End function
	.set _ZN9rocsparseL26prune_dense2csr_nnz_kernelILi64ELi16EfEEviiPKT1_lNS_24const_host_device_scalarIS1_EEPib.num_vgpr, 33
	.set _ZN9rocsparseL26prune_dense2csr_nnz_kernelILi64ELi16EfEEviiPKT1_lNS_24const_host_device_scalarIS1_EEPib.num_agpr, 0
	.set _ZN9rocsparseL26prune_dense2csr_nnz_kernelILi64ELi16EfEEviiPKT1_lNS_24const_host_device_scalarIS1_EEPib.numbered_sgpr, 20
	.set _ZN9rocsparseL26prune_dense2csr_nnz_kernelILi64ELi16EfEEviiPKT1_lNS_24const_host_device_scalarIS1_EEPib.num_named_barrier, 0
	.set _ZN9rocsparseL26prune_dense2csr_nnz_kernelILi64ELi16EfEEviiPKT1_lNS_24const_host_device_scalarIS1_EEPib.private_seg_size, 0
	.set _ZN9rocsparseL26prune_dense2csr_nnz_kernelILi64ELi16EfEEviiPKT1_lNS_24const_host_device_scalarIS1_EEPib.uses_vcc, 1
	.set _ZN9rocsparseL26prune_dense2csr_nnz_kernelILi64ELi16EfEEviiPKT1_lNS_24const_host_device_scalarIS1_EEPib.uses_flat_scratch, 0
	.set _ZN9rocsparseL26prune_dense2csr_nnz_kernelILi64ELi16EfEEviiPKT1_lNS_24const_host_device_scalarIS1_EEPib.has_dyn_sized_stack, 0
	.set _ZN9rocsparseL26prune_dense2csr_nnz_kernelILi64ELi16EfEEviiPKT1_lNS_24const_host_device_scalarIS1_EEPib.has_recursion, 0
	.set _ZN9rocsparseL26prune_dense2csr_nnz_kernelILi64ELi16EfEEviiPKT1_lNS_24const_host_device_scalarIS1_EEPib.has_indirect_call, 0
	.section	.AMDGPU.csdata,"",@progbits
; Kernel info:
; codeLenInByte = 2964
; TotalNumSgprs: 22
; NumVgprs: 33
; ScratchSize: 0
; MemoryBound: 0
; FloatMode: 240
; IeeeMode: 1
; LDSByteSize: 16384 bytes/workgroup (compile time only)
; SGPRBlocks: 0
; VGPRBlocks: 2
; NumSGPRsForWavesPerEU: 22
; NumVGPRsForWavesPerEU: 33
; NamedBarCnt: 0
; Occupancy: 16
; WaveLimiterHint : 0
; COMPUTE_PGM_RSRC2:SCRATCH_EN: 0
; COMPUTE_PGM_RSRC2:USER_SGPR: 2
; COMPUTE_PGM_RSRC2:TRAP_HANDLER: 0
; COMPUTE_PGM_RSRC2:TGID_X_EN: 1
; COMPUTE_PGM_RSRC2:TGID_Y_EN: 0
; COMPUTE_PGM_RSRC2:TGID_Z_EN: 0
; COMPUTE_PGM_RSRC2:TIDIG_COMP_CNT: 1
	.section	.text._ZN9rocsparseL26prune_dense2csr_nnz_kernelILi64ELi16EdEEviiPKT1_lNS_24const_host_device_scalarIS1_EEPib,"axG",@progbits,_ZN9rocsparseL26prune_dense2csr_nnz_kernelILi64ELi16EdEEviiPKT1_lNS_24const_host_device_scalarIS1_EEPib,comdat
	.globl	_ZN9rocsparseL26prune_dense2csr_nnz_kernelILi64ELi16EdEEviiPKT1_lNS_24const_host_device_scalarIS1_EEPib ; -- Begin function _ZN9rocsparseL26prune_dense2csr_nnz_kernelILi64ELi16EdEEviiPKT1_lNS_24const_host_device_scalarIS1_EEPib
	.p2align	8
	.type	_ZN9rocsparseL26prune_dense2csr_nnz_kernelILi64ELi16EdEEviiPKT1_lNS_24const_host_device_scalarIS1_EEPib,@function
_ZN9rocsparseL26prune_dense2csr_nnz_kernelILi64ELi16EdEEviiPKT1_lNS_24const_host_device_scalarIS1_EEPib: ; @_ZN9rocsparseL26prune_dense2csr_nnz_kernelILi64ELi16EdEEviiPKT1_lNS_24const_host_device_scalarIS1_EEPib
; %bb.0:
	s_clause 0x1
	s_load_b32 s2, s[0:1], 0x28
	s_load_b128 s[8:11], s[0:1], 0x10
	s_wait_kmcnt 0x0
	s_bitcmp1_b32 s2, 0
	v_mov_b64_e32 v[4:5], s[10:11]
	s_cselect_b32 s2, -1, 0
	s_delay_alu instid0(SALU_CYCLE_1)
	s_and_b32 vcc_lo, exec_lo, s2
	s_cbranch_vccnz .LBB2_2
; %bb.1:
	v_mov_b32_e32 v1, 0
	flat_load_b64 v[4:5], v1, s[10:11]
.LBB2_2:
	s_clause 0x2
	s_load_b32 s2, s[0:1], 0x3c
	s_load_b128 s[4:7], s[0:1], 0x0
	s_load_b64 s[10:11], s[0:1], 0x20
	v_and_b32_e32 v1, 0x3ff, v0
	v_bfe_u32 v2, v0, 10, 10
	s_wait_xcnt 0x0
	s_bfe_u32 s1, ttmp6, 0x4000c
	s_and_b32 s0, ttmp6, 15
	s_add_co_i32 s1, s1, 1
	s_getreg_b32 s3, hwreg(HW_REG_IB_STS2, 6, 4)
	s_mul_i32 s1, ttmp9, s1
	s_mov_b32 s17, 0
	s_add_co_i32 s0, s0, s1
	s_mov_b32 s16, exec_lo
	s_wait_kmcnt 0x0
	s_and_b32 s2, s2, 0xffff
	s_cmp_eq_u32 s3, 0
	v_mad_u32_u24 v28, v2, s2, v1
	v_mov_b32_e32 v0, 0
	s_cselect_b32 s0, ttmp9, s0
	s_ashr_i32 s1, s5, 31
	s_lshl_b32 s14, s0, 8
	s_delay_alu instid0(VALU_DEP_1) | instskip(SKIP_2) | instid1(SALU_CYCLE_1)
	v_dual_mov_b32 v1, v0 :: v_dual_lshrrev_b32 v2, 4, v28
	v_and_b32_e32 v29, 63, v28
	s_lshr_b32 s1, s1, 26
	s_add_co_i32 s15, s5, s1
	s_delay_alu instid0(VALU_DEP_2) | instskip(NEXT) | instid1(VALU_DEP_2)
	v_and_b32_e32 v6, 0x7ffffc, v2
	v_dual_mov_b32 v2, v0 :: v_dual_bitop2_b32 v8, s14, v29 bitop3:0x54
	v_mov_b32_e32 v3, v0
	s_and_not1_b32 s15, s15, 63
	s_delay_alu instid0(VALU_DEP_2)
	v_or_b32_e32 v32, 64, v8
	v_or_b32_e32 v31, 0x80, v8
	;; [unrolled: 1-line block ×3, first 2 shown]
	v_cmpx_gt_i32_e64 s15, v6
	s_cbranch_execz .LBB2_14
; %bb.3:
	v_dual_mov_b32 v3, v0 :: v_dual_lshrrev_b32 v2, 6, v28
	v_cmp_gt_i32_e64 s0, s4, v32
	v_cmp_gt_i32_e64 s1, s4, v31
	;; [unrolled: 1-line block ×3, first 2 shown]
	s_delay_alu instid0(VALU_DEP_4) | instskip(SKIP_3) | instid1(VALU_DEP_3)
	v_dual_lshlrev_b32 v1, 2, v2 :: v_dual_mov_b32 v11, v0
	v_mov_b32_e32 v13, v0
	v_mul_u64_e32 v[2:3], s[8:9], v[2:3]
	s_lshl_b64 s[12:13], s[8:9], 9
	v_or_b32_e32 v10, 2, v1
	v_cmp_gt_i32_e32 vcc_lo, s4, v8
	s_delay_alu instid0(VALU_DEP_2) | instskip(SKIP_1) | instid1(VALU_DEP_1)
	v_mul_u64_e32 v[16:17], s[8:9], v[10:11]
	v_add_nc_u32_e32 v10, s14, v29
	v_dual_ashrrev_i32 v11, 31, v10 :: v_dual_bitop2_b32 v12, 3, v1 bitop3:0x54
	s_delay_alu instid0(VALU_DEP_1) | instskip(SKIP_1) | instid1(VALU_DEP_1)
	v_mul_u64_e32 v[18:19], s[8:9], v[12:13]
	v_mad_nc_u64_u32 v[12:13], s8, v1, s[8:9]
	v_mad_u32 v13, s9, v1, v13
	v_mov_b32_e32 v1, v0
	v_lshlrev_b64_e32 v[10:11], 3, v[10:11]
	v_lshlrev_b64_e32 v[14:15], 5, v[2:3]
	v_dual_mov_b32 v2, v0 :: v_dual_mov_b32 v3, v0
	v_lshl_add_u64 v[12:13], v[12:13], 3, s[6:7]
	s_delay_alu instid0(VALU_DEP_3)
	v_add_nc_u64_e32 v[14:15], s[6:7], v[14:15]
	v_lshl_add_u64 v[16:17], v[16:17], 3, s[6:7]
	v_lshl_add_u64 v[18:19], v[18:19], 3, s[6:7]
	s_branch .LBB2_5
.LBB2_4:                                ;   in Loop: Header=BB2_5 Depth=1
	s_or_b32 exec_lo, exec_lo, s18
	v_add_nc_u32_e32 v6, 64, v6
	v_add_nc_u64_e32 v[16:17], s[12:13], v[16:17]
	v_add_nc_u64_e32 v[18:19], s[12:13], v[18:19]
	;; [unrolled: 1-line block ×4, first 2 shown]
	v_cmp_le_i32_e64 s3, s15, v6
	s_or_b32 s17, s3, s17
	s_delay_alu instid0(SALU_CYCLE_1)
	s_and_not1_b32 exec_lo, exec_lo, s17
	s_cbranch_execz .LBB2_13
.LBB2_5:                                ; =>This Inner Loop Header: Depth=1
	s_delay_alu instid0(VALU_DEP_3)
	v_add_nc_u64_e32 v[20:21], v[14:15], v[10:11]
	v_add_nc_u64_e32 v[22:23], v[12:13], v[10:11]
	;; [unrolled: 1-line block ×4, first 2 shown]
	s_and_saveexec_b32 s18, vcc_lo
	s_cbranch_execnz .LBB2_9
; %bb.6:                                ;   in Loop: Header=BB2_5 Depth=1
	s_or_b32 exec_lo, exec_lo, s18
	s_and_saveexec_b32 s18, s0
	s_cbranch_execnz .LBB2_10
.LBB2_7:                                ;   in Loop: Header=BB2_5 Depth=1
	s_or_b32 exec_lo, exec_lo, s18
	s_and_saveexec_b32 s18, s1
	s_cbranch_execnz .LBB2_11
.LBB2_8:                                ;   in Loop: Header=BB2_5 Depth=1
	s_or_b32 exec_lo, exec_lo, s18
	s_and_saveexec_b32 s18, s2
	s_cbranch_execz .LBB2_4
	s_branch .LBB2_12
.LBB2_9:                                ;   in Loop: Header=BB2_5 Depth=1
	global_load_b64 v[34:35], v[20:21], off
	global_load_b64 v[36:37], v[22:23], off
	;; [unrolled: 1-line block ×4, first 2 shown]
	s_wait_loadcnt_dscnt 0x300
	v_cmp_gt_f64_e64 s3, |v[34:35]|, v[4:5]
	s_delay_alu instid0(VALU_DEP_1) | instskip(SKIP_2) | instid1(VALU_DEP_1)
	v_cndmask_b32_e64 v7, 0, 1, s3
	s_wait_loadcnt 0x2
	v_cmp_gt_f64_e64 s3, |v[36:37]|, v[4:5]
	v_add_co_ci_u32_e64 v0, null, v0, v7, s3
	s_wait_loadcnt 0x1
	v_cmp_gt_f64_e64 s3, |v[38:39]|, v[4:5]
	s_delay_alu instid0(VALU_DEP_1) | instskip(SKIP_2) | instid1(VALU_DEP_1)
	v_cndmask_b32_e64 v7, 0, 1, s3
	s_wait_loadcnt 0x0
	v_cmp_gt_f64_e64 s3, |v[40:41]|, v[4:5]
	v_add_co_ci_u32_e64 v0, null, v0, v7, s3
	s_or_b32 exec_lo, exec_lo, s18
	s_and_saveexec_b32 s18, s0
	s_cbranch_execz .LBB2_7
.LBB2_10:                               ;   in Loop: Header=BB2_5 Depth=1
	global_load_b64 v[34:35], v[20:21], off offset:512
	global_load_b64 v[36:37], v[22:23], off offset:512
	;; [unrolled: 1-line block ×4, first 2 shown]
	s_wait_loadcnt_dscnt 0x300
	v_cmp_gt_f64_e64 s3, |v[34:35]|, v[4:5]
	s_delay_alu instid0(VALU_DEP_1) | instskip(SKIP_2) | instid1(VALU_DEP_1)
	v_cndmask_b32_e64 v7, 0, 1, s3
	s_wait_loadcnt 0x2
	v_cmp_gt_f64_e64 s3, |v[36:37]|, v[4:5]
	v_add_co_ci_u32_e64 v1, null, v1, v7, s3
	s_wait_loadcnt 0x1
	v_cmp_gt_f64_e64 s3, |v[38:39]|, v[4:5]
	s_delay_alu instid0(VALU_DEP_1) | instskip(SKIP_2) | instid1(VALU_DEP_1)
	v_cndmask_b32_e64 v7, 0, 1, s3
	s_wait_loadcnt 0x0
	v_cmp_gt_f64_e64 s3, |v[40:41]|, v[4:5]
	v_add_co_ci_u32_e64 v1, null, v1, v7, s3
	s_or_b32 exec_lo, exec_lo, s18
	s_and_saveexec_b32 s18, s1
	s_cbranch_execz .LBB2_8
.LBB2_11:                               ;   in Loop: Header=BB2_5 Depth=1
	global_load_b64 v[34:35], v[20:21], off offset:1024
	global_load_b64 v[36:37], v[22:23], off offset:1024
	global_load_b64 v[38:39], v[24:25], off offset:1024
	global_load_b64 v[40:41], v[26:27], off offset:1024
	s_wait_loadcnt_dscnt 0x300
	v_cmp_gt_f64_e64 s3, |v[34:35]|, v[4:5]
	s_delay_alu instid0(VALU_DEP_1) | instskip(SKIP_2) | instid1(VALU_DEP_1)
	v_cndmask_b32_e64 v7, 0, 1, s3
	s_wait_loadcnt 0x2
	v_cmp_gt_f64_e64 s3, |v[36:37]|, v[4:5]
	v_add_co_ci_u32_e64 v2, null, v2, v7, s3
	s_wait_loadcnt 0x1
	v_cmp_gt_f64_e64 s3, |v[38:39]|, v[4:5]
	s_delay_alu instid0(VALU_DEP_1) | instskip(SKIP_2) | instid1(VALU_DEP_1)
	v_cndmask_b32_e64 v7, 0, 1, s3
	s_wait_loadcnt 0x0
	v_cmp_gt_f64_e64 s3, |v[40:41]|, v[4:5]
	v_add_co_ci_u32_e64 v2, null, v2, v7, s3
	s_or_b32 exec_lo, exec_lo, s18
	s_and_saveexec_b32 s18, s2
	s_cbranch_execz .LBB2_4
.LBB2_12:                               ;   in Loop: Header=BB2_5 Depth=1
	global_load_b64 v[34:35], v[20:21], off offset:1536
	global_load_b64 v[36:37], v[22:23], off offset:1536
	global_load_b64 v[38:39], v[24:25], off offset:1536
	global_load_b64 v[40:41], v[26:27], off offset:1536
	s_wait_loadcnt_dscnt 0x300
	v_cmp_gt_f64_e64 s3, |v[34:35]|, v[4:5]
	s_delay_alu instid0(VALU_DEP_1) | instskip(SKIP_2) | instid1(VALU_DEP_1)
	v_cndmask_b32_e64 v7, 0, 1, s3
	s_wait_loadcnt 0x2
	v_cmp_gt_f64_e64 s3, |v[36:37]|, v[4:5]
	v_add_co_ci_u32_e64 v3, null, v3, v7, s3
	s_wait_loadcnt 0x1
	v_cmp_gt_f64_e64 s3, |v[38:39]|, v[4:5]
	s_delay_alu instid0(VALU_DEP_1) | instskip(SKIP_2) | instid1(VALU_DEP_1)
	v_cndmask_b32_e64 v7, 0, 1, s3
	s_wait_loadcnt 0x0
	v_cmp_gt_f64_e64 s3, |v[40:41]|, v[4:5]
	v_add_co_ci_u32_e64 v3, null, v3, v7, s3
	s_branch .LBB2_4
.LBB2_13:
	s_or_b32 exec_lo, exec_lo, s17
.LBB2_14:
	s_delay_alu instid0(SALU_CYCLE_1) | instskip(SKIP_1) | instid1(SALU_CYCLE_1)
	s_or_b32 exec_lo, exec_lo, s16
	s_sub_co_i32 s0, s5, s15
	s_cmp_lt_i32 s0, 1
	s_cbranch_scc1 .LBB2_56
; %bb.15:
	v_ashrrev_i32_e32 v9, 31, v8
	s_mov_b32 s0, exec_lo
	v_cmpx_gt_i32_e64 s4, v8
	s_cbranch_execnz .LBB2_19
; %bb.16:
	s_or_b32 exec_lo, exec_lo, s0
	s_delay_alu instid0(SALU_CYCLE_1)
	s_mov_b32 s0, exec_lo
	v_cmpx_gt_i32_e64 s4, v32
	s_cbranch_execnz .LBB2_28
.LBB2_17:
	s_or_b32 exec_lo, exec_lo, s0
	s_delay_alu instid0(SALU_CYCLE_1)
	s_mov_b32 s0, exec_lo
	v_cmpx_gt_i32_e64 s4, v31
	s_cbranch_execnz .LBB2_37
.LBB2_18:
	s_or_b32 exec_lo, exec_lo, s0
	s_delay_alu instid0(SALU_CYCLE_1)
	s_mov_b32 s0, exec_lo
	v_cmpx_gt_i32_e64 s4, v30
	s_cbranch_execnz .LBB2_46
	s_branch .LBB2_55
.LBB2_19:
	s_delay_alu instid0(VALU_DEP_2)
	v_lshl_add_u64 v[10:11], v[8:9], 3, s[6:7]
	s_mov_b32 s1, exec_lo
	v_cmpx_gt_i32_e64 s5, v6
	s_cbranch_execz .LBB2_21
; %bb.20:
	v_mov_b32_e32 v7, 0
	s_delay_alu instid0(VALU_DEP_1) | instskip(NEXT) | instid1(VALU_DEP_1)
	v_mul_u64_e32 v[12:13], s[8:9], v[6:7]
	v_lshl_add_u64 v[12:13], v[12:13], 3, v[10:11]
	global_load_b64 v[12:13], v[12:13], off
	s_wait_loadcnt_dscnt 0x0
	v_cmp_gt_f64_e64 vcc_lo, |v[12:13]|, v[4:5]
	s_delay_alu instid0(VALU_DEP_1)
	v_add_co_ci_u32_e64 v0, null, 0, v0, vcc_lo
.LBB2_21:
	s_or_b32 exec_lo, exec_lo, s1
	v_or_b32_e32 v12, 1, v6
	s_mov_b32 s1, exec_lo
	s_delay_alu instid0(VALU_DEP_1)
	v_cmpx_gt_i32_e64 s5, v12
	s_cbranch_execz .LBB2_23
; %bb.22:
	v_mov_b32_e32 v13, 0
	s_delay_alu instid0(VALU_DEP_1) | instskip(NEXT) | instid1(VALU_DEP_1)
	v_mul_u64_e32 v[12:13], s[8:9], v[12:13]
	v_lshl_add_u64 v[12:13], v[12:13], 3, v[10:11]
	global_load_b64 v[12:13], v[12:13], off
	s_wait_loadcnt_dscnt 0x0
	v_cmp_gt_f64_e64 vcc_lo, |v[12:13]|, v[4:5]
	s_delay_alu instid0(VALU_DEP_1)
	v_add_co_ci_u32_e64 v0, null, 0, v0, vcc_lo
.LBB2_23:
	s_or_b32 exec_lo, exec_lo, s1
	v_or_b32_e32 v12, 2, v6
	s_mov_b32 s1, exec_lo
	s_delay_alu instid0(VALU_DEP_1)
	;; [unrolled: 17-line block ×3, first 2 shown]
	v_cmpx_gt_i32_e64 s5, v12
	s_cbranch_execz .LBB2_27
; %bb.26:
	v_mov_b32_e32 v13, 0
	s_delay_alu instid0(VALU_DEP_1) | instskip(NEXT) | instid1(VALU_DEP_1)
	v_mul_u64_e32 v[12:13], s[8:9], v[12:13]
	v_lshl_add_u64 v[10:11], v[12:13], 3, v[10:11]
	global_load_b64 v[10:11], v[10:11], off
	s_wait_loadcnt_dscnt 0x0
	v_cmp_gt_f64_e64 vcc_lo, |v[10:11]|, v[4:5]
	s_delay_alu instid0(VALU_DEP_1)
	v_add_co_ci_u32_e64 v0, null, 0, v0, vcc_lo
.LBB2_27:
	s_or_b32 exec_lo, exec_lo, s1
	s_delay_alu instid0(SALU_CYCLE_1) | instskip(NEXT) | instid1(SALU_CYCLE_1)
	s_or_b32 exec_lo, exec_lo, s0
	s_mov_b32 s0, exec_lo
	v_cmpx_gt_i32_e64 s4, v32
	s_cbranch_execz .LBB2_17
.LBB2_28:
	v_lshl_add_u64 v[10:11], v[8:9], 3, s[6:7]
	s_mov_b32 s1, exec_lo
	v_cmpx_gt_i32_e64 s5, v6
	s_cbranch_execz .LBB2_30
; %bb.29:
	v_mov_b32_e32 v7, 0
	s_delay_alu instid0(VALU_DEP_1) | instskip(NEXT) | instid1(VALU_DEP_1)
	v_mul_u64_e32 v[12:13], s[8:9], v[6:7]
	v_lshl_add_u64 v[12:13], v[12:13], 3, v[10:11]
	global_load_b64 v[12:13], v[12:13], off offset:512
	s_wait_loadcnt_dscnt 0x0
	v_cmp_gt_f64_e64 vcc_lo, |v[12:13]|, v[4:5]
	s_delay_alu instid0(VALU_DEP_1)
	v_add_co_ci_u32_e64 v1, null, 0, v1, vcc_lo
.LBB2_30:
	s_or_b32 exec_lo, exec_lo, s1
	v_or_b32_e32 v12, 1, v6
	s_mov_b32 s1, exec_lo
	s_delay_alu instid0(VALU_DEP_1)
	v_cmpx_gt_i32_e64 s5, v12
	s_cbranch_execz .LBB2_32
; %bb.31:
	v_mov_b32_e32 v13, 0
	s_delay_alu instid0(VALU_DEP_1) | instskip(NEXT) | instid1(VALU_DEP_1)
	v_mul_u64_e32 v[12:13], s[8:9], v[12:13]
	v_lshl_add_u64 v[12:13], v[12:13], 3, v[10:11]
	global_load_b64 v[12:13], v[12:13], off offset:512
	s_wait_loadcnt_dscnt 0x0
	v_cmp_gt_f64_e64 vcc_lo, |v[12:13]|, v[4:5]
	s_delay_alu instid0(VALU_DEP_1)
	v_add_co_ci_u32_e64 v1, null, 0, v1, vcc_lo
.LBB2_32:
	s_or_b32 exec_lo, exec_lo, s1
	v_or_b32_e32 v12, 2, v6
	s_mov_b32 s1, exec_lo
	s_delay_alu instid0(VALU_DEP_1)
	;; [unrolled: 17-line block ×3, first 2 shown]
	v_cmpx_gt_i32_e64 s5, v12
	s_cbranch_execz .LBB2_36
; %bb.35:
	v_mov_b32_e32 v13, 0
	s_delay_alu instid0(VALU_DEP_1) | instskip(NEXT) | instid1(VALU_DEP_1)
	v_mul_u64_e32 v[12:13], s[8:9], v[12:13]
	v_lshl_add_u64 v[10:11], v[12:13], 3, v[10:11]
	global_load_b64 v[10:11], v[10:11], off offset:512
	s_wait_loadcnt_dscnt 0x0
	v_cmp_gt_f64_e64 vcc_lo, |v[10:11]|, v[4:5]
	s_delay_alu instid0(VALU_DEP_1)
	v_add_co_ci_u32_e64 v1, null, 0, v1, vcc_lo
.LBB2_36:
	s_or_b32 exec_lo, exec_lo, s1
	s_delay_alu instid0(SALU_CYCLE_1) | instskip(NEXT) | instid1(SALU_CYCLE_1)
	s_or_b32 exec_lo, exec_lo, s0
	s_mov_b32 s0, exec_lo
	v_cmpx_gt_i32_e64 s4, v31
	s_cbranch_execz .LBB2_18
.LBB2_37:
	v_lshl_add_u64 v[10:11], v[8:9], 3, s[6:7]
	s_mov_b32 s1, exec_lo
	v_cmpx_gt_i32_e64 s5, v6
	s_cbranch_execz .LBB2_39
; %bb.38:
	v_mov_b32_e32 v7, 0
	s_delay_alu instid0(VALU_DEP_1) | instskip(NEXT) | instid1(VALU_DEP_1)
	v_mul_u64_e32 v[12:13], s[8:9], v[6:7]
	v_lshl_add_u64 v[12:13], v[12:13], 3, v[10:11]
	global_load_b64 v[12:13], v[12:13], off offset:1024
	s_wait_loadcnt_dscnt 0x0
	v_cmp_gt_f64_e64 vcc_lo, |v[12:13]|, v[4:5]
	s_delay_alu instid0(VALU_DEP_1)
	v_add_co_ci_u32_e64 v2, null, 0, v2, vcc_lo
.LBB2_39:
	s_or_b32 exec_lo, exec_lo, s1
	v_or_b32_e32 v12, 1, v6
	s_mov_b32 s1, exec_lo
	s_delay_alu instid0(VALU_DEP_1)
	v_cmpx_gt_i32_e64 s5, v12
	s_cbranch_execz .LBB2_41
; %bb.40:
	v_mov_b32_e32 v13, 0
	s_delay_alu instid0(VALU_DEP_1) | instskip(NEXT) | instid1(VALU_DEP_1)
	v_mul_u64_e32 v[12:13], s[8:9], v[12:13]
	v_lshl_add_u64 v[12:13], v[12:13], 3, v[10:11]
	global_load_b64 v[12:13], v[12:13], off offset:1024
	s_wait_loadcnt_dscnt 0x0
	v_cmp_gt_f64_e64 vcc_lo, |v[12:13]|, v[4:5]
	s_delay_alu instid0(VALU_DEP_1)
	v_add_co_ci_u32_e64 v2, null, 0, v2, vcc_lo
.LBB2_41:
	s_or_b32 exec_lo, exec_lo, s1
	v_or_b32_e32 v12, 2, v6
	s_mov_b32 s1, exec_lo
	s_delay_alu instid0(VALU_DEP_1)
	;; [unrolled: 17-line block ×3, first 2 shown]
	v_cmpx_gt_i32_e64 s5, v12
	s_cbranch_execz .LBB2_45
; %bb.44:
	v_mov_b32_e32 v13, 0
	s_delay_alu instid0(VALU_DEP_1) | instskip(NEXT) | instid1(VALU_DEP_1)
	v_mul_u64_e32 v[12:13], s[8:9], v[12:13]
	v_lshl_add_u64 v[10:11], v[12:13], 3, v[10:11]
	global_load_b64 v[10:11], v[10:11], off offset:1024
	s_wait_loadcnt_dscnt 0x0
	v_cmp_gt_f64_e64 vcc_lo, |v[10:11]|, v[4:5]
	s_delay_alu instid0(VALU_DEP_1)
	v_add_co_ci_u32_e64 v2, null, 0, v2, vcc_lo
.LBB2_45:
	s_or_b32 exec_lo, exec_lo, s1
	s_delay_alu instid0(SALU_CYCLE_1) | instskip(NEXT) | instid1(SALU_CYCLE_1)
	s_or_b32 exec_lo, exec_lo, s0
	s_mov_b32 s0, exec_lo
	v_cmpx_gt_i32_e64 s4, v30
	s_cbranch_execz .LBB2_55
.LBB2_46:
	v_lshl_add_u64 v[8:9], v[8:9], 3, s[6:7]
	s_mov_b32 s1, exec_lo
	v_cmpx_gt_i32_e64 s5, v6
	s_cbranch_execz .LBB2_48
; %bb.47:
	v_mov_b32_e32 v7, 0
	s_delay_alu instid0(VALU_DEP_1) | instskip(NEXT) | instid1(VALU_DEP_1)
	v_mul_u64_e32 v[10:11], s[8:9], v[6:7]
	v_lshl_add_u64 v[10:11], v[10:11], 3, v[8:9]
	global_load_b64 v[10:11], v[10:11], off offset:1536
	s_wait_loadcnt_dscnt 0x0
	v_cmp_gt_f64_e64 vcc_lo, |v[10:11]|, v[4:5]
	s_delay_alu instid0(VALU_DEP_1)
	v_add_co_ci_u32_e64 v3, null, 0, v3, vcc_lo
.LBB2_48:
	s_or_b32 exec_lo, exec_lo, s1
	v_or_b32_e32 v10, 1, v6
	s_mov_b32 s1, exec_lo
	s_delay_alu instid0(VALU_DEP_1)
	v_cmpx_gt_i32_e64 s5, v10
	s_cbranch_execz .LBB2_50
; %bb.49:
	v_mov_b32_e32 v11, 0
	s_delay_alu instid0(VALU_DEP_1) | instskip(NEXT) | instid1(VALU_DEP_1)
	v_mul_u64_e32 v[10:11], s[8:9], v[10:11]
	v_lshl_add_u64 v[10:11], v[10:11], 3, v[8:9]
	global_load_b64 v[10:11], v[10:11], off offset:1536
	s_wait_loadcnt_dscnt 0x0
	v_cmp_gt_f64_e64 vcc_lo, |v[10:11]|, v[4:5]
	s_delay_alu instid0(VALU_DEP_1)
	v_add_co_ci_u32_e64 v3, null, 0, v3, vcc_lo
.LBB2_50:
	s_or_b32 exec_lo, exec_lo, s1
	v_or_b32_e32 v10, 2, v6
	s_mov_b32 s1, exec_lo
	s_delay_alu instid0(VALU_DEP_1)
	v_cmpx_gt_i32_e64 s5, v10
	s_cbranch_execz .LBB2_52
; %bb.51:
	v_mov_b32_e32 v11, 0
	s_delay_alu instid0(VALU_DEP_1) | instskip(NEXT) | instid1(VALU_DEP_1)
	v_mul_u64_e32 v[10:11], s[8:9], v[10:11]
	v_lshl_add_u64 v[10:11], v[10:11], 3, v[8:9]
	global_load_b64 v[10:11], v[10:11], off offset:1536
	s_wait_loadcnt_dscnt 0x0
	v_cmp_gt_f64_e64 vcc_lo, |v[10:11]|, v[4:5]
	s_delay_alu instid0(VALU_DEP_1)
	v_add_co_ci_u32_e64 v3, null, 0, v3, vcc_lo
.LBB2_52:
	s_or_b32 exec_lo, exec_lo, s1
	v_or_b32_e32 v6, 3, v6
	s_mov_b32 s1, exec_lo
	s_delay_alu instid0(VALU_DEP_1)
	v_cmpx_gt_i32_e64 s5, v6
	s_cbranch_execz .LBB2_54
; %bb.53:
	v_mov_b32_e32 v7, 0
	s_delay_alu instid0(VALU_DEP_1) | instskip(NEXT) | instid1(VALU_DEP_1)
	v_mul_u64_e32 v[6:7], s[8:9], v[6:7]
	v_lshl_add_u64 v[6:7], v[6:7], 3, v[8:9]
	global_load_b64 v[6:7], v[6:7], off offset:1536
	s_wait_loadcnt_dscnt 0x0
	v_cmp_gt_f64_e64 vcc_lo, |v[6:7]|, v[4:5]
	s_delay_alu instid0(VALU_DEP_1)
	v_add_co_ci_u32_e64 v3, null, 0, v3, vcc_lo
.LBB2_54:
	s_or_b32 exec_lo, exec_lo, s1
.LBB2_55:
	s_delay_alu instid0(SALU_CYCLE_1)
	s_or_b32 exec_lo, exec_lo, s0
.LBB2_56:
	s_wait_loadcnt_dscnt 0x0
	v_dual_lshlrev_b32 v4, 4, v28 :: v_dual_lshlrev_b32 v5, 2, v29
	s_mov_b32 s0, exec_lo
	s_delay_alu instid0(VALU_DEP_1)
	v_and_or_b32 v4, 0x7ffffc00, v4, v5
	ds_store_2addr_stride64_b32 v4, v0, v1 offset1:1
	ds_store_2addr_stride64_b32 v4, v2, v3 offset0:2 offset1:3
	s_wait_dscnt 0x0
	s_barrier_signal -1
	s_barrier_wait -1
	v_cmpx_gt_u32_e32 0x100, v28
	s_cbranch_execz .LBB2_59
; %bb.57:
	v_lshlrev_b32_e32 v8, 2, v28
	ds_load_2addr_stride64_b32 v[0:1], v8 offset1:4
	ds_load_2addr_stride64_b32 v[2:3], v8 offset0:8 offset1:12
	ds_load_2addr_stride64_b32 v[4:5], v8 offset0:16 offset1:20
	;; [unrolled: 1-line block ×3, first 2 shown]
	s_wait_dscnt 0x3
	v_add_nc_u32_e32 v9, v1, v0
	ds_load_2addr_stride64_b32 v[0:1], v8 offset0:32 offset1:36
	s_wait_dscnt 0x3
	v_add3_u32 v9, v9, v2, v3
	ds_load_2addr_stride64_b32 v[2:3], v8 offset0:40 offset1:44
	s_wait_dscnt 0x3
	v_add3_u32 v9, v9, v4, v5
	;; [unrolled: 3-line block ×3, first 2 shown]
	s_wait_dscnt 0x2
	s_delay_alu instid0(VALU_DEP_1) | instskip(SKIP_1) | instid1(VALU_DEP_1)
	v_add3_u32 v0, v9, v0, v1
	s_wait_dscnt 0x1
	v_add3_u32 v0, v0, v2, v3
	s_wait_dscnt 0x0
	s_delay_alu instid0(VALU_DEP_1)
	v_add3_u32 v1, v0, v4, v5
	v_or_b32_e32 v0, s14, v28
	ds_load_2addr_stride64_b32 v[6:7], v8 offset0:56 offset1:60
	v_cmp_gt_i32_e32 vcc_lo, s4, v0
	s_wait_dscnt 0x0
	v_add3_u32 v1, v1, v6, v7
	ds_store_b32 v8, v1
	s_and_b32 exec_lo, exec_lo, vcc_lo
	s_cbranch_execz .LBB2_59
; %bb.58:
	global_store_b32 v0, v1, s[10:11] scale_offset
.LBB2_59:
	s_endpgm
	.section	.rodata,"a",@progbits
	.p2align	6, 0x0
	.amdhsa_kernel _ZN9rocsparseL26prune_dense2csr_nnz_kernelILi64ELi16EdEEviiPKT1_lNS_24const_host_device_scalarIS1_EEPib
		.amdhsa_group_segment_fixed_size 16384
		.amdhsa_private_segment_fixed_size 0
		.amdhsa_kernarg_size 304
		.amdhsa_user_sgpr_count 2
		.amdhsa_user_sgpr_dispatch_ptr 0
		.amdhsa_user_sgpr_queue_ptr 0
		.amdhsa_user_sgpr_kernarg_segment_ptr 1
		.amdhsa_user_sgpr_dispatch_id 0
		.amdhsa_user_sgpr_kernarg_preload_length 0
		.amdhsa_user_sgpr_kernarg_preload_offset 0
		.amdhsa_user_sgpr_private_segment_size 0
		.amdhsa_wavefront_size32 1
		.amdhsa_uses_dynamic_stack 0
		.amdhsa_enable_private_segment 0
		.amdhsa_system_sgpr_workgroup_id_x 1
		.amdhsa_system_sgpr_workgroup_id_y 0
		.amdhsa_system_sgpr_workgroup_id_z 0
		.amdhsa_system_sgpr_workgroup_info 0
		.amdhsa_system_vgpr_workitem_id 1
		.amdhsa_next_free_vgpr 42
		.amdhsa_next_free_sgpr 19
		.amdhsa_named_barrier_count 0
		.amdhsa_reserve_vcc 1
		.amdhsa_float_round_mode_32 0
		.amdhsa_float_round_mode_16_64 0
		.amdhsa_float_denorm_mode_32 3
		.amdhsa_float_denorm_mode_16_64 3
		.amdhsa_fp16_overflow 0
		.amdhsa_memory_ordered 1
		.amdhsa_forward_progress 1
		.amdhsa_inst_pref_size 24
		.amdhsa_round_robin_scheduling 0
		.amdhsa_exception_fp_ieee_invalid_op 0
		.amdhsa_exception_fp_denorm_src 0
		.amdhsa_exception_fp_ieee_div_zero 0
		.amdhsa_exception_fp_ieee_overflow 0
		.amdhsa_exception_fp_ieee_underflow 0
		.amdhsa_exception_fp_ieee_inexact 0
		.amdhsa_exception_int_div_zero 0
	.end_amdhsa_kernel
	.section	.text._ZN9rocsparseL26prune_dense2csr_nnz_kernelILi64ELi16EdEEviiPKT1_lNS_24const_host_device_scalarIS1_EEPib,"axG",@progbits,_ZN9rocsparseL26prune_dense2csr_nnz_kernelILi64ELi16EdEEviiPKT1_lNS_24const_host_device_scalarIS1_EEPib,comdat
.Lfunc_end2:
	.size	_ZN9rocsparseL26prune_dense2csr_nnz_kernelILi64ELi16EdEEviiPKT1_lNS_24const_host_device_scalarIS1_EEPib, .Lfunc_end2-_ZN9rocsparseL26prune_dense2csr_nnz_kernelILi64ELi16EdEEviiPKT1_lNS_24const_host_device_scalarIS1_EEPib
                                        ; -- End function
	.set _ZN9rocsparseL26prune_dense2csr_nnz_kernelILi64ELi16EdEEviiPKT1_lNS_24const_host_device_scalarIS1_EEPib.num_vgpr, 42
	.set _ZN9rocsparseL26prune_dense2csr_nnz_kernelILi64ELi16EdEEviiPKT1_lNS_24const_host_device_scalarIS1_EEPib.num_agpr, 0
	.set _ZN9rocsparseL26prune_dense2csr_nnz_kernelILi64ELi16EdEEviiPKT1_lNS_24const_host_device_scalarIS1_EEPib.numbered_sgpr, 19
	.set _ZN9rocsparseL26prune_dense2csr_nnz_kernelILi64ELi16EdEEviiPKT1_lNS_24const_host_device_scalarIS1_EEPib.num_named_barrier, 0
	.set _ZN9rocsparseL26prune_dense2csr_nnz_kernelILi64ELi16EdEEviiPKT1_lNS_24const_host_device_scalarIS1_EEPib.private_seg_size, 0
	.set _ZN9rocsparseL26prune_dense2csr_nnz_kernelILi64ELi16EdEEviiPKT1_lNS_24const_host_device_scalarIS1_EEPib.uses_vcc, 1
	.set _ZN9rocsparseL26prune_dense2csr_nnz_kernelILi64ELi16EdEEviiPKT1_lNS_24const_host_device_scalarIS1_EEPib.uses_flat_scratch, 0
	.set _ZN9rocsparseL26prune_dense2csr_nnz_kernelILi64ELi16EdEEviiPKT1_lNS_24const_host_device_scalarIS1_EEPib.has_dyn_sized_stack, 0
	.set _ZN9rocsparseL26prune_dense2csr_nnz_kernelILi64ELi16EdEEviiPKT1_lNS_24const_host_device_scalarIS1_EEPib.has_recursion, 0
	.set _ZN9rocsparseL26prune_dense2csr_nnz_kernelILi64ELi16EdEEviiPKT1_lNS_24const_host_device_scalarIS1_EEPib.has_indirect_call, 0
	.section	.AMDGPU.csdata,"",@progbits
; Kernel info:
; codeLenInByte = 2984
; TotalNumSgprs: 21
; NumVgprs: 42
; ScratchSize: 0
; MemoryBound: 0
; FloatMode: 240
; IeeeMode: 1
; LDSByteSize: 16384 bytes/workgroup (compile time only)
; SGPRBlocks: 0
; VGPRBlocks: 2
; NumSGPRsForWavesPerEU: 21
; NumVGPRsForWavesPerEU: 42
; NamedBarCnt: 0
; Occupancy: 16
; WaveLimiterHint : 0
; COMPUTE_PGM_RSRC2:SCRATCH_EN: 0
; COMPUTE_PGM_RSRC2:USER_SGPR: 2
; COMPUTE_PGM_RSRC2:TRAP_HANDLER: 0
; COMPUTE_PGM_RSRC2:TGID_X_EN: 1
; COMPUTE_PGM_RSRC2:TGID_Y_EN: 0
; COMPUTE_PGM_RSRC2:TGID_Z_EN: 0
; COMPUTE_PGM_RSRC2:TIDIG_COMP_CNT: 1
	.section	.text._ZN9rocsparseL22prune_dense2csr_kernelILi16ELi32EfEEv21rocsparse_index_base_iiPKT1_lNS_24const_host_device_scalarIS2_EEPS2_PKiPib,"axG",@progbits,_ZN9rocsparseL22prune_dense2csr_kernelILi16ELi32EfEEv21rocsparse_index_base_iiPKT1_lNS_24const_host_device_scalarIS2_EEPS2_PKiPib,comdat
	.globl	_ZN9rocsparseL22prune_dense2csr_kernelILi16ELi32EfEEv21rocsparse_index_base_iiPKT1_lNS_24const_host_device_scalarIS2_EEPS2_PKiPib ; -- Begin function _ZN9rocsparseL22prune_dense2csr_kernelILi16ELi32EfEEv21rocsparse_index_base_iiPKT1_lNS_24const_host_device_scalarIS2_EEPS2_PKiPib
	.p2align	8
	.type	_ZN9rocsparseL22prune_dense2csr_kernelILi16ELi32EfEEv21rocsparse_index_base_iiPKT1_lNS_24const_host_device_scalarIS2_EEPS2_PKiPib,@function
_ZN9rocsparseL22prune_dense2csr_kernelILi16ELi32EfEEv21rocsparse_index_base_iiPKT1_lNS_24const_host_device_scalarIS2_EEPS2_PKiPib: ; @_ZN9rocsparseL22prune_dense2csr_kernelILi16ELi32EfEEv21rocsparse_index_base_iiPKT1_lNS_24const_host_device_scalarIS2_EEPS2_PKiPib
; %bb.0:
	s_clause 0x1
	s_load_b32 s2, s[0:1], 0x40
	s_load_b128 s[4:7], s[0:1], 0x18
	s_wait_kmcnt 0x0
	s_bitcmp1_b32 s2, 0
	s_cselect_b32 s2, -1, 0
	s_delay_alu instid0(SALU_CYCLE_1)
	s_and_b32 vcc_lo, exec_lo, s2
	s_cbranch_vccnz .LBB3_2
; %bb.1:
	s_load_b32 s6, s[6:7], 0x0
.LBB3_2:
	s_nop 0
	s_load_b96 s[12:14], s[0:1], 0x0
	s_bfe_u32 s2, ttmp6, 0x4000c
	s_and_b32 s3, ttmp6, 15
	s_add_co_i32 s2, s2, 1
	s_wait_xcnt 0x0
	s_getreg_b32 s7, hwreg(HW_REG_IB_STS2, 6, 4)
	s_mul_i32 s2, ttmp9, s2
	v_lshrrev_b32_e32 v1, 5, v0
	s_add_co_i32 s3, s3, s2
	s_cmp_eq_u32 s7, 0
	s_cselect_b32 s2, ttmp9, s3
	s_delay_alu instid0(VALU_DEP_1) | instid1(SALU_CYCLE_1)
	v_lshl_or_b32 v4, s2, 4, v1
	s_mov_b32 s2, exec_lo
	s_wait_kmcnt 0x0
	s_delay_alu instid0(VALU_DEP_1)
	v_cmpx_gt_i32_e64 s13, v4
	s_cbranch_execz .LBB3_8
; %bb.3:
	v_and_b32_e32 v0, 31, v0
	s_delay_alu instid0(VALU_DEP_1)
	v_cmp_gt_i32_e32 vcc_lo, s14, v0
	s_and_b32 exec_lo, exec_lo, vcc_lo
	s_cbranch_execz .LBB3_8
; %bb.4:
	s_clause 0x1
	s_load_b128 s[8:11], s[0:1], 0x28
	s_load_b64 s[2:3], s[0:1], 0x10
	v_dual_mov_b32 v3, 0 :: v_dual_ashrrev_i32 v5, 31, v4
	s_wait_xcnt 0x0
	s_load_b64 s[0:1], s[0:1], 0x38
	s_mov_b32 s7, 0
	s_delay_alu instid0(VALU_DEP_1) | instskip(NEXT) | instid1(VALU_DEP_1)
	v_mov_b32_e32 v1, v3
	v_mul_u64_e32 v[6:7], s[4:5], v[0:1]
	v_xor_b32_e32 v1, 31, v0
	s_wait_kmcnt 0x0
	global_load_b32 v2, v4, s[10:11] scale_offset
	s_wait_xcnt 0x0
	v_lshlrev_b64_e32 v[4:5], 2, v[4:5]
	s_delay_alu instid0(VALU_DEP_1) | instskip(SKIP_2) | instid1(VALU_DEP_3)
	v_lshl_add_u64 v[6:7], v[6:7], 2, v[4:5]
	v_lshrrev_b32_e64 v4, v1, -1
	v_mov_b32_e32 v1, 0x7c
	v_add_nc_u64_e32 v[6:7], s[2:3], v[6:7]
	s_lshl_b64 s[2:3], s[4:5], 7
	s_wait_loadcnt 0x0
	v_subrev_nc_u32_e32 v8, s12, v2
	s_branch .LBB3_6
.LBB3_5:                                ;   in Loop: Header=BB3_6 Depth=1
	s_wait_xcnt 0x0
	s_or_b32 exec_lo, exec_lo, s4
	ds_bpermute_b32 v2, v1, v2
	v_add_nc_u32_e32 v0, 32, v0
	v_add_nc_u64_e32 v[6:7], s[2:3], v[6:7]
	s_delay_alu instid0(VALU_DEP_2)
	v_cmp_le_i32_e32 vcc_lo, s14, v0
	s_or_b32 s7, vcc_lo, s7
	s_wait_dscnt 0x0
	v_add_nc_u32_e32 v8, v2, v8
	s_and_not1_b32 exec_lo, exec_lo, s7
	s_cbranch_execz .LBB3_8
.LBB3_6:                                ; =>This Inner Loop Header: Depth=1
	s_barrier_signal -1
	s_barrier_wait -1
	global_load_b32 v5, v[6:7], off
	s_wait_loadcnt 0x0
	v_cmp_gt_f32_e64 s5, |v5|, s6
	s_delay_alu instid0(VALU_DEP_1) | instskip(NEXT) | instid1(VALU_DEP_1)
	v_and_b32_e32 v2, s5, v4
	v_bcnt_u32_b32 v2, v2, 0
	s_wait_xcnt 0x0
	s_and_saveexec_b32 s4, s5
	s_cbranch_execz .LBB3_5
; %bb.7:                                ;   in Loop: Header=BB3_6 Depth=1
	v_ashrrev_i32_e32 v9, 31, v8
	s_delay_alu instid0(VALU_DEP_1) | instskip(SKIP_1) | instid1(VALU_DEP_2)
	v_add_nc_u64_e32 v[10:11], v[8:9], v[2:3]
	v_add_nc_u32_e32 v9, s12, v0
	v_lshlrev_b64_e32 v[10:11], 2, v[10:11]
	s_delay_alu instid0(VALU_DEP_1)
	v_add_nc_u64_e32 v[12:13], s[8:9], v[10:11]
	v_add_nc_u64_e32 v[10:11], s[0:1], v[10:11]
	global_store_b32 v[12:13], v5, off offset:-4
	global_store_b32 v[10:11], v9, off offset:-4
	s_branch .LBB3_5
.LBB3_8:
	s_endpgm
	.section	.rodata,"a",@progbits
	.p2align	6, 0x0
	.amdhsa_kernel _ZN9rocsparseL22prune_dense2csr_kernelILi16ELi32EfEEv21rocsparse_index_base_iiPKT1_lNS_24const_host_device_scalarIS2_EEPS2_PKiPib
		.amdhsa_group_segment_fixed_size 0
		.amdhsa_private_segment_fixed_size 0
		.amdhsa_kernarg_size 68
		.amdhsa_user_sgpr_count 2
		.amdhsa_user_sgpr_dispatch_ptr 0
		.amdhsa_user_sgpr_queue_ptr 0
		.amdhsa_user_sgpr_kernarg_segment_ptr 1
		.amdhsa_user_sgpr_dispatch_id 0
		.amdhsa_user_sgpr_kernarg_preload_length 0
		.amdhsa_user_sgpr_kernarg_preload_offset 0
		.amdhsa_user_sgpr_private_segment_size 0
		.amdhsa_wavefront_size32 1
		.amdhsa_uses_dynamic_stack 0
		.amdhsa_enable_private_segment 0
		.amdhsa_system_sgpr_workgroup_id_x 1
		.amdhsa_system_sgpr_workgroup_id_y 0
		.amdhsa_system_sgpr_workgroup_id_z 0
		.amdhsa_system_sgpr_workgroup_info 0
		.amdhsa_system_vgpr_workitem_id 0
		.amdhsa_next_free_vgpr 14
		.amdhsa_next_free_sgpr 15
		.amdhsa_named_barrier_count 0
		.amdhsa_reserve_vcc 1
		.amdhsa_float_round_mode_32 0
		.amdhsa_float_round_mode_16_64 0
		.amdhsa_float_denorm_mode_32 3
		.amdhsa_float_denorm_mode_16_64 3
		.amdhsa_fp16_overflow 0
		.amdhsa_memory_ordered 1
		.amdhsa_forward_progress 1
		.amdhsa_inst_pref_size 4
		.amdhsa_round_robin_scheduling 0
		.amdhsa_exception_fp_ieee_invalid_op 0
		.amdhsa_exception_fp_denorm_src 0
		.amdhsa_exception_fp_ieee_div_zero 0
		.amdhsa_exception_fp_ieee_overflow 0
		.amdhsa_exception_fp_ieee_underflow 0
		.amdhsa_exception_fp_ieee_inexact 0
		.amdhsa_exception_int_div_zero 0
	.end_amdhsa_kernel
	.section	.text._ZN9rocsparseL22prune_dense2csr_kernelILi16ELi32EfEEv21rocsparse_index_base_iiPKT1_lNS_24const_host_device_scalarIS2_EEPS2_PKiPib,"axG",@progbits,_ZN9rocsparseL22prune_dense2csr_kernelILi16ELi32EfEEv21rocsparse_index_base_iiPKT1_lNS_24const_host_device_scalarIS2_EEPS2_PKiPib,comdat
.Lfunc_end3:
	.size	_ZN9rocsparseL22prune_dense2csr_kernelILi16ELi32EfEEv21rocsparse_index_base_iiPKT1_lNS_24const_host_device_scalarIS2_EEPS2_PKiPib, .Lfunc_end3-_ZN9rocsparseL22prune_dense2csr_kernelILi16ELi32EfEEv21rocsparse_index_base_iiPKT1_lNS_24const_host_device_scalarIS2_EEPS2_PKiPib
                                        ; -- End function
	.set _ZN9rocsparseL22prune_dense2csr_kernelILi16ELi32EfEEv21rocsparse_index_base_iiPKT1_lNS_24const_host_device_scalarIS2_EEPS2_PKiPib.num_vgpr, 14
	.set _ZN9rocsparseL22prune_dense2csr_kernelILi16ELi32EfEEv21rocsparse_index_base_iiPKT1_lNS_24const_host_device_scalarIS2_EEPS2_PKiPib.num_agpr, 0
	.set _ZN9rocsparseL22prune_dense2csr_kernelILi16ELi32EfEEv21rocsparse_index_base_iiPKT1_lNS_24const_host_device_scalarIS2_EEPS2_PKiPib.numbered_sgpr, 15
	.set _ZN9rocsparseL22prune_dense2csr_kernelILi16ELi32EfEEv21rocsparse_index_base_iiPKT1_lNS_24const_host_device_scalarIS2_EEPS2_PKiPib.num_named_barrier, 0
	.set _ZN9rocsparseL22prune_dense2csr_kernelILi16ELi32EfEEv21rocsparse_index_base_iiPKT1_lNS_24const_host_device_scalarIS2_EEPS2_PKiPib.private_seg_size, 0
	.set _ZN9rocsparseL22prune_dense2csr_kernelILi16ELi32EfEEv21rocsparse_index_base_iiPKT1_lNS_24const_host_device_scalarIS2_EEPS2_PKiPib.uses_vcc, 1
	.set _ZN9rocsparseL22prune_dense2csr_kernelILi16ELi32EfEEv21rocsparse_index_base_iiPKT1_lNS_24const_host_device_scalarIS2_EEPS2_PKiPib.uses_flat_scratch, 0
	.set _ZN9rocsparseL22prune_dense2csr_kernelILi16ELi32EfEEv21rocsparse_index_base_iiPKT1_lNS_24const_host_device_scalarIS2_EEPS2_PKiPib.has_dyn_sized_stack, 0
	.set _ZN9rocsparseL22prune_dense2csr_kernelILi16ELi32EfEEv21rocsparse_index_base_iiPKT1_lNS_24const_host_device_scalarIS2_EEPS2_PKiPib.has_recursion, 0
	.set _ZN9rocsparseL22prune_dense2csr_kernelILi16ELi32EfEEv21rocsparse_index_base_iiPKT1_lNS_24const_host_device_scalarIS2_EEPS2_PKiPib.has_indirect_call, 0
	.section	.AMDGPU.csdata,"",@progbits
; Kernel info:
; codeLenInByte = 476
; TotalNumSgprs: 17
; NumVgprs: 14
; ScratchSize: 0
; MemoryBound: 0
; FloatMode: 240
; IeeeMode: 1
; LDSByteSize: 0 bytes/workgroup (compile time only)
; SGPRBlocks: 0
; VGPRBlocks: 0
; NumSGPRsForWavesPerEU: 17
; NumVGPRsForWavesPerEU: 14
; NamedBarCnt: 0
; Occupancy: 16
; WaveLimiterHint : 0
; COMPUTE_PGM_RSRC2:SCRATCH_EN: 0
; COMPUTE_PGM_RSRC2:USER_SGPR: 2
; COMPUTE_PGM_RSRC2:TRAP_HANDLER: 0
; COMPUTE_PGM_RSRC2:TGID_X_EN: 1
; COMPUTE_PGM_RSRC2:TGID_Y_EN: 0
; COMPUTE_PGM_RSRC2:TGID_Z_EN: 0
; COMPUTE_PGM_RSRC2:TIDIG_COMP_CNT: 0
	.section	.text._ZN9rocsparseL22prune_dense2csr_kernelILi16ELi64EfEEv21rocsparse_index_base_iiPKT1_lNS_24const_host_device_scalarIS2_EEPS2_PKiPib,"axG",@progbits,_ZN9rocsparseL22prune_dense2csr_kernelILi16ELi64EfEEv21rocsparse_index_base_iiPKT1_lNS_24const_host_device_scalarIS2_EEPS2_PKiPib,comdat
	.globl	_ZN9rocsparseL22prune_dense2csr_kernelILi16ELi64EfEEv21rocsparse_index_base_iiPKT1_lNS_24const_host_device_scalarIS2_EEPS2_PKiPib ; -- Begin function _ZN9rocsparseL22prune_dense2csr_kernelILi16ELi64EfEEv21rocsparse_index_base_iiPKT1_lNS_24const_host_device_scalarIS2_EEPS2_PKiPib
	.p2align	8
	.type	_ZN9rocsparseL22prune_dense2csr_kernelILi16ELi64EfEEv21rocsparse_index_base_iiPKT1_lNS_24const_host_device_scalarIS2_EEPS2_PKiPib,@function
_ZN9rocsparseL22prune_dense2csr_kernelILi16ELi64EfEEv21rocsparse_index_base_iiPKT1_lNS_24const_host_device_scalarIS2_EEPS2_PKiPib: ; @_ZN9rocsparseL22prune_dense2csr_kernelILi16ELi64EfEEv21rocsparse_index_base_iiPKT1_lNS_24const_host_device_scalarIS2_EEPS2_PKiPib
; %bb.0:
	s_clause 0x1
	s_load_b32 s2, s[0:1], 0x40
	s_load_b128 s[4:7], s[0:1], 0x18
	s_wait_kmcnt 0x0
	s_bitcmp1_b32 s2, 0
	s_cselect_b32 s2, -1, 0
	s_delay_alu instid0(SALU_CYCLE_1)
	s_and_b32 vcc_lo, exec_lo, s2
	s_cbranch_vccnz .LBB4_2
; %bb.1:
	s_load_b32 s6, s[6:7], 0x0
.LBB4_2:
	s_nop 0
	s_load_b96 s[12:14], s[0:1], 0x0
	s_bfe_u32 s2, ttmp6, 0x4000c
	s_and_b32 s3, ttmp6, 15
	s_add_co_i32 s2, s2, 1
	s_wait_xcnt 0x0
	s_getreg_b32 s7, hwreg(HW_REG_IB_STS2, 6, 4)
	s_mul_i32 s2, ttmp9, s2
	v_lshrrev_b32_e32 v1, 6, v0
	s_add_co_i32 s3, s3, s2
	s_cmp_eq_u32 s7, 0
	s_cselect_b32 s2, ttmp9, s3
	s_delay_alu instid0(VALU_DEP_1) | instid1(SALU_CYCLE_1)
	v_lshl_or_b32 v4, s2, 4, v1
	s_mov_b32 s2, exec_lo
	s_wait_kmcnt 0x0
	s_delay_alu instid0(VALU_DEP_1)
	v_cmpx_gt_i32_e64 s13, v4
	s_cbranch_execz .LBB4_8
; %bb.3:
	v_and_b32_e32 v0, 63, v0
	s_delay_alu instid0(VALU_DEP_1)
	v_cmp_gt_i32_e32 vcc_lo, s14, v0
	s_and_b32 exec_lo, exec_lo, vcc_lo
	s_cbranch_execz .LBB4_8
; %bb.4:
	s_clause 0x1
	s_load_b128 s[8:11], s[0:1], 0x28
	s_load_b64 s[2:3], s[0:1], 0x10
	v_dual_mov_b32 v3, 0 :: v_dual_ashrrev_i32 v5, 31, v4
	s_wait_xcnt 0x0
	s_load_b64 s[0:1], s[0:1], 0x38
	s_delay_alu instid0(VALU_DEP_1) | instskip(NEXT) | instid1(VALU_DEP_1)
	v_mov_b32_e32 v1, v3
	v_mul_u64_e32 v[6:7], s[4:5], v[0:1]
	v_xor_b32_e32 v1, 63, v0
	s_wait_kmcnt 0x0
	global_load_b32 v2, v4, s[10:11] scale_offset
	s_wait_xcnt 0x0
	v_lshlrev_b64_e32 v[4:5], 2, v[4:5]
	s_delay_alu instid0(VALU_DEP_1) | instskip(SKIP_2) | instid1(VALU_DEP_3)
	v_lshl_add_u64 v[6:7], v[6:7], 2, v[4:5]
	v_lshrrev_b64 v[4:5], v1, -1
	v_mov_b32_e32 v1, 0x7c
	v_add_nc_u64_e32 v[6:7], s[2:3], v[6:7]
	s_lshl_b64 s[2:3], s[4:5], 8
	s_mov_b32 s4, 0
	s_wait_loadcnt 0x0
	v_subrev_nc_u32_e32 v8, s12, v2
	s_branch .LBB4_6
.LBB4_5:                                ;   in Loop: Header=BB4_6 Depth=1
	s_wait_xcnt 0x0
	s_or_b32 exec_lo, exec_lo, s5
	ds_bpermute_b32 v2, v1, v2
	v_add_nc_u32_e32 v0, 64, v0
	v_add_nc_u64_e32 v[6:7], s[2:3], v[6:7]
	s_delay_alu instid0(VALU_DEP_2)
	v_cmp_le_i32_e32 vcc_lo, s14, v0
	s_or_b32 s4, vcc_lo, s4
	s_wait_dscnt 0x0
	v_add_nc_u32_e32 v8, v2, v8
	s_and_not1_b32 exec_lo, exec_lo, s4
	s_cbranch_execz .LBB4_8
.LBB4_6:                                ; =>This Inner Loop Header: Depth=1
	s_barrier_signal -1
	s_barrier_wait -1
	global_load_b32 v5, v[6:7], off
	s_wait_loadcnt 0x0
	v_cmp_gt_f32_e64 s7, |v5|, s6
	s_delay_alu instid0(VALU_DEP_1) | instskip(NEXT) | instid1(VALU_DEP_1)
	v_and_b32_e32 v2, s7, v4
	v_bcnt_u32_b32 v2, v2, 0
	s_wait_xcnt 0x0
	s_and_saveexec_b32 s5, s7
	s_cbranch_execz .LBB4_5
; %bb.7:                                ;   in Loop: Header=BB4_6 Depth=1
	v_ashrrev_i32_e32 v9, 31, v8
	s_delay_alu instid0(VALU_DEP_1) | instskip(SKIP_1) | instid1(VALU_DEP_2)
	v_add_nc_u64_e32 v[10:11], v[8:9], v[2:3]
	v_add_nc_u32_e32 v9, s12, v0
	v_lshlrev_b64_e32 v[10:11], 2, v[10:11]
	s_delay_alu instid0(VALU_DEP_1)
	v_add_nc_u64_e32 v[12:13], s[8:9], v[10:11]
	v_add_nc_u64_e32 v[10:11], s[0:1], v[10:11]
	global_store_b32 v[12:13], v5, off offset:-4
	global_store_b32 v[10:11], v9, off offset:-4
	s_branch .LBB4_5
.LBB4_8:
	s_endpgm
	.section	.rodata,"a",@progbits
	.p2align	6, 0x0
	.amdhsa_kernel _ZN9rocsparseL22prune_dense2csr_kernelILi16ELi64EfEEv21rocsparse_index_base_iiPKT1_lNS_24const_host_device_scalarIS2_EEPS2_PKiPib
		.amdhsa_group_segment_fixed_size 0
		.amdhsa_private_segment_fixed_size 0
		.amdhsa_kernarg_size 68
		.amdhsa_user_sgpr_count 2
		.amdhsa_user_sgpr_dispatch_ptr 0
		.amdhsa_user_sgpr_queue_ptr 0
		.amdhsa_user_sgpr_kernarg_segment_ptr 1
		.amdhsa_user_sgpr_dispatch_id 0
		.amdhsa_user_sgpr_kernarg_preload_length 0
		.amdhsa_user_sgpr_kernarg_preload_offset 0
		.amdhsa_user_sgpr_private_segment_size 0
		.amdhsa_wavefront_size32 1
		.amdhsa_uses_dynamic_stack 0
		.amdhsa_enable_private_segment 0
		.amdhsa_system_sgpr_workgroup_id_x 1
		.amdhsa_system_sgpr_workgroup_id_y 0
		.amdhsa_system_sgpr_workgroup_id_z 0
		.amdhsa_system_sgpr_workgroup_info 0
		.amdhsa_system_vgpr_workitem_id 0
		.amdhsa_next_free_vgpr 14
		.amdhsa_next_free_sgpr 15
		.amdhsa_named_barrier_count 0
		.amdhsa_reserve_vcc 1
		.amdhsa_float_round_mode_32 0
		.amdhsa_float_round_mode_16_64 0
		.amdhsa_float_denorm_mode_32 3
		.amdhsa_float_denorm_mode_16_64 3
		.amdhsa_fp16_overflow 0
		.amdhsa_memory_ordered 1
		.amdhsa_forward_progress 1
		.amdhsa_inst_pref_size 4
		.amdhsa_round_robin_scheduling 0
		.amdhsa_exception_fp_ieee_invalid_op 0
		.amdhsa_exception_fp_denorm_src 0
		.amdhsa_exception_fp_ieee_div_zero 0
		.amdhsa_exception_fp_ieee_overflow 0
		.amdhsa_exception_fp_ieee_underflow 0
		.amdhsa_exception_fp_ieee_inexact 0
		.amdhsa_exception_int_div_zero 0
	.end_amdhsa_kernel
	.section	.text._ZN9rocsparseL22prune_dense2csr_kernelILi16ELi64EfEEv21rocsparse_index_base_iiPKT1_lNS_24const_host_device_scalarIS2_EEPS2_PKiPib,"axG",@progbits,_ZN9rocsparseL22prune_dense2csr_kernelILi16ELi64EfEEv21rocsparse_index_base_iiPKT1_lNS_24const_host_device_scalarIS2_EEPS2_PKiPib,comdat
.Lfunc_end4:
	.size	_ZN9rocsparseL22prune_dense2csr_kernelILi16ELi64EfEEv21rocsparse_index_base_iiPKT1_lNS_24const_host_device_scalarIS2_EEPS2_PKiPib, .Lfunc_end4-_ZN9rocsparseL22prune_dense2csr_kernelILi16ELi64EfEEv21rocsparse_index_base_iiPKT1_lNS_24const_host_device_scalarIS2_EEPS2_PKiPib
                                        ; -- End function
	.set _ZN9rocsparseL22prune_dense2csr_kernelILi16ELi64EfEEv21rocsparse_index_base_iiPKT1_lNS_24const_host_device_scalarIS2_EEPS2_PKiPib.num_vgpr, 14
	.set _ZN9rocsparseL22prune_dense2csr_kernelILi16ELi64EfEEv21rocsparse_index_base_iiPKT1_lNS_24const_host_device_scalarIS2_EEPS2_PKiPib.num_agpr, 0
	.set _ZN9rocsparseL22prune_dense2csr_kernelILi16ELi64EfEEv21rocsparse_index_base_iiPKT1_lNS_24const_host_device_scalarIS2_EEPS2_PKiPib.numbered_sgpr, 15
	.set _ZN9rocsparseL22prune_dense2csr_kernelILi16ELi64EfEEv21rocsparse_index_base_iiPKT1_lNS_24const_host_device_scalarIS2_EEPS2_PKiPib.num_named_barrier, 0
	.set _ZN9rocsparseL22prune_dense2csr_kernelILi16ELi64EfEEv21rocsparse_index_base_iiPKT1_lNS_24const_host_device_scalarIS2_EEPS2_PKiPib.private_seg_size, 0
	.set _ZN9rocsparseL22prune_dense2csr_kernelILi16ELi64EfEEv21rocsparse_index_base_iiPKT1_lNS_24const_host_device_scalarIS2_EEPS2_PKiPib.uses_vcc, 1
	.set _ZN9rocsparseL22prune_dense2csr_kernelILi16ELi64EfEEv21rocsparse_index_base_iiPKT1_lNS_24const_host_device_scalarIS2_EEPS2_PKiPib.uses_flat_scratch, 0
	.set _ZN9rocsparseL22prune_dense2csr_kernelILi16ELi64EfEEv21rocsparse_index_base_iiPKT1_lNS_24const_host_device_scalarIS2_EEPS2_PKiPib.has_dyn_sized_stack, 0
	.set _ZN9rocsparseL22prune_dense2csr_kernelILi16ELi64EfEEv21rocsparse_index_base_iiPKT1_lNS_24const_host_device_scalarIS2_EEPS2_PKiPib.has_recursion, 0
	.set _ZN9rocsparseL22prune_dense2csr_kernelILi16ELi64EfEEv21rocsparse_index_base_iiPKT1_lNS_24const_host_device_scalarIS2_EEPS2_PKiPib.has_indirect_call, 0
	.section	.AMDGPU.csdata,"",@progbits
; Kernel info:
; codeLenInByte = 476
; TotalNumSgprs: 17
; NumVgprs: 14
; ScratchSize: 0
; MemoryBound: 0
; FloatMode: 240
; IeeeMode: 1
; LDSByteSize: 0 bytes/workgroup (compile time only)
; SGPRBlocks: 0
; VGPRBlocks: 0
; NumSGPRsForWavesPerEU: 17
; NumVGPRsForWavesPerEU: 14
; NamedBarCnt: 0
; Occupancy: 16
; WaveLimiterHint : 0
; COMPUTE_PGM_RSRC2:SCRATCH_EN: 0
; COMPUTE_PGM_RSRC2:USER_SGPR: 2
; COMPUTE_PGM_RSRC2:TRAP_HANDLER: 0
; COMPUTE_PGM_RSRC2:TGID_X_EN: 1
; COMPUTE_PGM_RSRC2:TGID_Y_EN: 0
; COMPUTE_PGM_RSRC2:TGID_Z_EN: 0
; COMPUTE_PGM_RSRC2:TIDIG_COMP_CNT: 0
	.section	.text._ZN9rocsparseL22prune_dense2csr_kernelILi8ELi32EdEEv21rocsparse_index_base_iiPKT1_lNS_24const_host_device_scalarIS2_EEPS2_PKiPib,"axG",@progbits,_ZN9rocsparseL22prune_dense2csr_kernelILi8ELi32EdEEv21rocsparse_index_base_iiPKT1_lNS_24const_host_device_scalarIS2_EEPS2_PKiPib,comdat
	.globl	_ZN9rocsparseL22prune_dense2csr_kernelILi8ELi32EdEEv21rocsparse_index_base_iiPKT1_lNS_24const_host_device_scalarIS2_EEPS2_PKiPib ; -- Begin function _ZN9rocsparseL22prune_dense2csr_kernelILi8ELi32EdEEv21rocsparse_index_base_iiPKT1_lNS_24const_host_device_scalarIS2_EEPS2_PKiPib
	.p2align	8
	.type	_ZN9rocsparseL22prune_dense2csr_kernelILi8ELi32EdEEv21rocsparse_index_base_iiPKT1_lNS_24const_host_device_scalarIS2_EEPS2_PKiPib,@function
_ZN9rocsparseL22prune_dense2csr_kernelILi8ELi32EdEEv21rocsparse_index_base_iiPKT1_lNS_24const_host_device_scalarIS2_EEPS2_PKiPib: ; @_ZN9rocsparseL22prune_dense2csr_kernelILi8ELi32EdEEv21rocsparse_index_base_iiPKT1_lNS_24const_host_device_scalarIS2_EEPS2_PKiPib
; %bb.0:
	s_clause 0x1
	s_load_b32 s2, s[0:1], 0x40
	s_load_b128 s[8:11], s[0:1], 0x18
	s_wait_kmcnt 0x0
	s_bitcmp1_b32 s2, 0
	v_mov_b64_e32 v[2:3], s[10:11]
	s_cselect_b32 s2, -1, 0
	s_delay_alu instid0(SALU_CYCLE_1)
	s_and_b32 vcc_lo, exec_lo, s2
	s_cbranch_vccnz .LBB5_2
; %bb.1:
	v_mov_b32_e32 v1, 0
	flat_load_b64 v[2:3], v1, s[10:11]
.LBB5_2:
	s_load_b96 s[12:14], s[0:1], 0x0
	s_bfe_u32 s2, ttmp6, 0x4000c
	s_and_b32 s3, ttmp6, 15
	s_add_co_i32 s2, s2, 1
	s_getreg_b32 s4, hwreg(HW_REG_IB_STS2, 6, 4)
	s_mul_i32 s2, ttmp9, s2
	v_lshrrev_b32_e32 v1, 5, v0
	s_add_co_i32 s3, s3, s2
	s_cmp_eq_u32 s4, 0
	s_cselect_b32 s2, ttmp9, s3
	s_delay_alu instid0(VALU_DEP_1) | instid1(SALU_CYCLE_1)
	v_lshl_or_b32 v6, s2, 3, v1
	s_mov_b32 s2, exec_lo
	s_wait_kmcnt 0x0
	s_delay_alu instid0(VALU_DEP_1)
	v_cmpx_gt_i32_e64 s13, v6
	s_cbranch_execz .LBB5_8
; %bb.3:
	v_and_b32_e32 v0, 31, v0
	s_delay_alu instid0(VALU_DEP_1)
	v_cmp_gt_i32_e32 vcc_lo, s14, v0
	s_and_b32 exec_lo, exec_lo, vcc_lo
	s_cbranch_execz .LBB5_8
; %bb.4:
	s_clause 0x1
	s_load_b128 s[4:7], s[0:1], 0x28
	s_load_b64 s[2:3], s[0:1], 0x10
	v_dual_mov_b32 v5, 0 :: v_dual_ashrrev_i32 v7, 31, v6
	s_wait_xcnt 0x0
	s_load_b64 s[0:1], s[0:1], 0x38
	s_delay_alu instid0(VALU_DEP_1) | instskip(NEXT) | instid1(VALU_DEP_1)
	v_mov_b32_e32 v1, v5
	v_mul_u64_e32 v[8:9], s[8:9], v[0:1]
	v_xor_b32_e32 v1, 31, v0
	s_wait_kmcnt 0x0
	global_load_b32 v4, v6, s[6:7] scale_offset
	s_wait_xcnt 0x0
	v_lshlrev_b64_e32 v[6:7], 3, v[6:7]
	s_mov_b32 s6, 0
	s_delay_alu instid0(VALU_DEP_1) | instskip(SKIP_2) | instid1(VALU_DEP_3)
	v_lshl_add_u64 v[8:9], v[8:9], 3, v[6:7]
	v_lshrrev_b32_e64 v6, v1, -1
	v_mov_b32_e32 v1, 0x7c
	v_add_nc_u64_e32 v[8:9], s[2:3], v[8:9]
	s_lshl_b64 s[2:3], s[8:9], 8
	s_wait_loadcnt 0x0
	v_subrev_nc_u32_e32 v10, s12, v4
	s_branch .LBB5_6
.LBB5_5:                                ;   in Loop: Header=BB5_6 Depth=1
	s_wait_xcnt 0x0
	s_or_b32 exec_lo, exec_lo, s7
	ds_bpermute_b32 v4, v1, v4
	v_add_nc_u32_e32 v0, 32, v0
	v_add_nc_u64_e32 v[8:9], s[2:3], v[8:9]
	s_wait_dscnt 0x0
	v_add_nc_u32_e32 v10, v4, v10
	s_delay_alu instid0(VALU_DEP_3) | instskip(SKIP_1) | instid1(SALU_CYCLE_1)
	v_cmp_le_i32_e32 vcc_lo, s14, v0
	s_or_b32 s6, vcc_lo, s6
	s_and_not1_b32 exec_lo, exec_lo, s6
	s_cbranch_execz .LBB5_8
.LBB5_6:                                ; =>This Inner Loop Header: Depth=1
	s_wait_dscnt 0x0
	s_barrier_signal -1
	s_barrier_wait -1
	global_load_b64 v[12:13], v[8:9], off
	s_wait_loadcnt 0x0
	v_cmp_gt_f64_e64 s8, |v[12:13]|, v[2:3]
	s_delay_alu instid0(VALU_DEP_1) | instskip(NEXT) | instid1(VALU_DEP_1)
	v_and_b32_e32 v4, s8, v6
	v_bcnt_u32_b32 v4, v4, 0
	s_wait_xcnt 0x0
	s_and_saveexec_b32 s7, s8
	s_cbranch_execz .LBB5_5
; %bb.7:                                ;   in Loop: Header=BB5_6 Depth=1
	v_dual_ashrrev_i32 v11, 31, v10 :: v_dual_add_nc_u32 v7, s12, v0
	s_delay_alu instid0(VALU_DEP_1) | instskip(NEXT) | instid1(VALU_DEP_1)
	v_add_nc_u64_e32 v[14:15], v[10:11], v[4:5]
	v_lshl_add_u64 v[16:17], v[14:15], 3, s[4:5]
	v_lshl_add_u64 v[14:15], v[14:15], 2, s[0:1]
	global_store_b64 v[16:17], v[12:13], off offset:-8
	global_store_b32 v[14:15], v7, off offset:-4
	s_branch .LBB5_5
.LBB5_8:
	s_endpgm
	.section	.rodata,"a",@progbits
	.p2align	6, 0x0
	.amdhsa_kernel _ZN9rocsparseL22prune_dense2csr_kernelILi8ELi32EdEEv21rocsparse_index_base_iiPKT1_lNS_24const_host_device_scalarIS2_EEPS2_PKiPib
		.amdhsa_group_segment_fixed_size 0
		.amdhsa_private_segment_fixed_size 0
		.amdhsa_kernarg_size 68
		.amdhsa_user_sgpr_count 2
		.amdhsa_user_sgpr_dispatch_ptr 0
		.amdhsa_user_sgpr_queue_ptr 0
		.amdhsa_user_sgpr_kernarg_segment_ptr 1
		.amdhsa_user_sgpr_dispatch_id 0
		.amdhsa_user_sgpr_kernarg_preload_length 0
		.amdhsa_user_sgpr_kernarg_preload_offset 0
		.amdhsa_user_sgpr_private_segment_size 0
		.amdhsa_wavefront_size32 1
		.amdhsa_uses_dynamic_stack 0
		.amdhsa_enable_private_segment 0
		.amdhsa_system_sgpr_workgroup_id_x 1
		.amdhsa_system_sgpr_workgroup_id_y 0
		.amdhsa_system_sgpr_workgroup_id_z 0
		.amdhsa_system_sgpr_workgroup_info 0
		.amdhsa_system_vgpr_workitem_id 0
		.amdhsa_next_free_vgpr 18
		.amdhsa_next_free_sgpr 15
		.amdhsa_named_barrier_count 0
		.amdhsa_reserve_vcc 1
		.amdhsa_float_round_mode_32 0
		.amdhsa_float_round_mode_16_64 0
		.amdhsa_float_denorm_mode_32 3
		.amdhsa_float_denorm_mode_16_64 3
		.amdhsa_fp16_overflow 0
		.amdhsa_memory_ordered 1
		.amdhsa_forward_progress 1
		.amdhsa_inst_pref_size 4
		.amdhsa_round_robin_scheduling 0
		.amdhsa_exception_fp_ieee_invalid_op 0
		.amdhsa_exception_fp_denorm_src 0
		.amdhsa_exception_fp_ieee_div_zero 0
		.amdhsa_exception_fp_ieee_overflow 0
		.amdhsa_exception_fp_ieee_underflow 0
		.amdhsa_exception_fp_ieee_inexact 0
		.amdhsa_exception_int_div_zero 0
	.end_amdhsa_kernel
	.section	.text._ZN9rocsparseL22prune_dense2csr_kernelILi8ELi32EdEEv21rocsparse_index_base_iiPKT1_lNS_24const_host_device_scalarIS2_EEPS2_PKiPib,"axG",@progbits,_ZN9rocsparseL22prune_dense2csr_kernelILi8ELi32EdEEv21rocsparse_index_base_iiPKT1_lNS_24const_host_device_scalarIS2_EEPS2_PKiPib,comdat
.Lfunc_end5:
	.size	_ZN9rocsparseL22prune_dense2csr_kernelILi8ELi32EdEEv21rocsparse_index_base_iiPKT1_lNS_24const_host_device_scalarIS2_EEPS2_PKiPib, .Lfunc_end5-_ZN9rocsparseL22prune_dense2csr_kernelILi8ELi32EdEEv21rocsparse_index_base_iiPKT1_lNS_24const_host_device_scalarIS2_EEPS2_PKiPib
                                        ; -- End function
	.set _ZN9rocsparseL22prune_dense2csr_kernelILi8ELi32EdEEv21rocsparse_index_base_iiPKT1_lNS_24const_host_device_scalarIS2_EEPS2_PKiPib.num_vgpr, 18
	.set _ZN9rocsparseL22prune_dense2csr_kernelILi8ELi32EdEEv21rocsparse_index_base_iiPKT1_lNS_24const_host_device_scalarIS2_EEPS2_PKiPib.num_agpr, 0
	.set _ZN9rocsparseL22prune_dense2csr_kernelILi8ELi32EdEEv21rocsparse_index_base_iiPKT1_lNS_24const_host_device_scalarIS2_EEPS2_PKiPib.numbered_sgpr, 15
	.set _ZN9rocsparseL22prune_dense2csr_kernelILi8ELi32EdEEv21rocsparse_index_base_iiPKT1_lNS_24const_host_device_scalarIS2_EEPS2_PKiPib.num_named_barrier, 0
	.set _ZN9rocsparseL22prune_dense2csr_kernelILi8ELi32EdEEv21rocsparse_index_base_iiPKT1_lNS_24const_host_device_scalarIS2_EEPS2_PKiPib.private_seg_size, 0
	.set _ZN9rocsparseL22prune_dense2csr_kernelILi8ELi32EdEEv21rocsparse_index_base_iiPKT1_lNS_24const_host_device_scalarIS2_EEPS2_PKiPib.uses_vcc, 1
	.set _ZN9rocsparseL22prune_dense2csr_kernelILi8ELi32EdEEv21rocsparse_index_base_iiPKT1_lNS_24const_host_device_scalarIS2_EEPS2_PKiPib.uses_flat_scratch, 0
	.set _ZN9rocsparseL22prune_dense2csr_kernelILi8ELi32EdEEv21rocsparse_index_base_iiPKT1_lNS_24const_host_device_scalarIS2_EEPS2_PKiPib.has_dyn_sized_stack, 0
	.set _ZN9rocsparseL22prune_dense2csr_kernelILi8ELi32EdEEv21rocsparse_index_base_iiPKT1_lNS_24const_host_device_scalarIS2_EEPS2_PKiPib.has_recursion, 0
	.set _ZN9rocsparseL22prune_dense2csr_kernelILi8ELi32EdEEv21rocsparse_index_base_iiPKT1_lNS_24const_host_device_scalarIS2_EEPS2_PKiPib.has_indirect_call, 0
	.section	.AMDGPU.csdata,"",@progbits
; Kernel info:
; codeLenInByte = 488
; TotalNumSgprs: 17
; NumVgprs: 18
; ScratchSize: 0
; MemoryBound: 0
; FloatMode: 240
; IeeeMode: 1
; LDSByteSize: 0 bytes/workgroup (compile time only)
; SGPRBlocks: 0
; VGPRBlocks: 1
; NumSGPRsForWavesPerEU: 17
; NumVGPRsForWavesPerEU: 18
; NamedBarCnt: 0
; Occupancy: 16
; WaveLimiterHint : 0
; COMPUTE_PGM_RSRC2:SCRATCH_EN: 0
; COMPUTE_PGM_RSRC2:USER_SGPR: 2
; COMPUTE_PGM_RSRC2:TRAP_HANDLER: 0
; COMPUTE_PGM_RSRC2:TGID_X_EN: 1
; COMPUTE_PGM_RSRC2:TGID_Y_EN: 0
; COMPUTE_PGM_RSRC2:TGID_Z_EN: 0
; COMPUTE_PGM_RSRC2:TIDIG_COMP_CNT: 0
	.section	.text._ZN9rocsparseL22prune_dense2csr_kernelILi8ELi64EdEEv21rocsparse_index_base_iiPKT1_lNS_24const_host_device_scalarIS2_EEPS2_PKiPib,"axG",@progbits,_ZN9rocsparseL22prune_dense2csr_kernelILi8ELi64EdEEv21rocsparse_index_base_iiPKT1_lNS_24const_host_device_scalarIS2_EEPS2_PKiPib,comdat
	.globl	_ZN9rocsparseL22prune_dense2csr_kernelILi8ELi64EdEEv21rocsparse_index_base_iiPKT1_lNS_24const_host_device_scalarIS2_EEPS2_PKiPib ; -- Begin function _ZN9rocsparseL22prune_dense2csr_kernelILi8ELi64EdEEv21rocsparse_index_base_iiPKT1_lNS_24const_host_device_scalarIS2_EEPS2_PKiPib
	.p2align	8
	.type	_ZN9rocsparseL22prune_dense2csr_kernelILi8ELi64EdEEv21rocsparse_index_base_iiPKT1_lNS_24const_host_device_scalarIS2_EEPS2_PKiPib,@function
_ZN9rocsparseL22prune_dense2csr_kernelILi8ELi64EdEEv21rocsparse_index_base_iiPKT1_lNS_24const_host_device_scalarIS2_EEPS2_PKiPib: ; @_ZN9rocsparseL22prune_dense2csr_kernelILi8ELi64EdEEv21rocsparse_index_base_iiPKT1_lNS_24const_host_device_scalarIS2_EEPS2_PKiPib
; %bb.0:
	s_clause 0x1
	s_load_b32 s2, s[0:1], 0x40
	s_load_b128 s[8:11], s[0:1], 0x18
	s_wait_kmcnt 0x0
	s_bitcmp1_b32 s2, 0
	v_mov_b64_e32 v[2:3], s[10:11]
	s_cselect_b32 s2, -1, 0
	s_delay_alu instid0(SALU_CYCLE_1)
	s_and_b32 vcc_lo, exec_lo, s2
	s_cbranch_vccnz .LBB6_2
; %bb.1:
	v_mov_b32_e32 v1, 0
	flat_load_b64 v[2:3], v1, s[10:11]
.LBB6_2:
	s_load_b96 s[12:14], s[0:1], 0x0
	s_bfe_u32 s2, ttmp6, 0x4000c
	s_and_b32 s3, ttmp6, 15
	s_add_co_i32 s2, s2, 1
	s_getreg_b32 s4, hwreg(HW_REG_IB_STS2, 6, 4)
	s_mul_i32 s2, ttmp9, s2
	v_lshrrev_b32_e32 v1, 6, v0
	s_add_co_i32 s3, s3, s2
	s_cmp_eq_u32 s4, 0
	s_cselect_b32 s2, ttmp9, s3
	s_delay_alu instid0(VALU_DEP_1) | instid1(SALU_CYCLE_1)
	v_lshl_or_b32 v6, s2, 3, v1
	s_mov_b32 s2, exec_lo
	s_wait_kmcnt 0x0
	s_delay_alu instid0(VALU_DEP_1)
	v_cmpx_gt_i32_e64 s13, v6
	s_cbranch_execz .LBB6_8
; %bb.3:
	v_and_b32_e32 v0, 63, v0
	s_delay_alu instid0(VALU_DEP_1)
	v_cmp_gt_i32_e32 vcc_lo, s14, v0
	s_and_b32 exec_lo, exec_lo, vcc_lo
	s_cbranch_execz .LBB6_8
; %bb.4:
	s_clause 0x1
	s_load_b128 s[4:7], s[0:1], 0x28
	s_load_b64 s[2:3], s[0:1], 0x10
	v_dual_mov_b32 v5, 0 :: v_dual_ashrrev_i32 v7, 31, v6
	s_wait_xcnt 0x0
	s_load_b64 s[0:1], s[0:1], 0x38
	s_delay_alu instid0(VALU_DEP_1) | instskip(NEXT) | instid1(VALU_DEP_1)
	v_mov_b32_e32 v1, v5
	v_mul_u64_e32 v[8:9], s[8:9], v[0:1]
	v_xor_b32_e32 v1, 63, v0
	s_wait_kmcnt 0x0
	global_load_b32 v4, v6, s[6:7] scale_offset
	s_wait_xcnt 0x0
	v_lshlrev_b64_e32 v[6:7], 3, v[6:7]
	s_mov_b32 s6, 0
	s_delay_alu instid0(VALU_DEP_1) | instskip(SKIP_2) | instid1(VALU_DEP_3)
	v_lshl_add_u64 v[8:9], v[8:9], 3, v[6:7]
	v_lshrrev_b64 v[6:7], v1, -1
	v_mov_b32_e32 v1, 0x7c
	v_add_nc_u64_e32 v[8:9], s[2:3], v[8:9]
	s_lshl_b64 s[2:3], s[8:9], 9
	s_wait_loadcnt 0x0
	v_subrev_nc_u32_e32 v10, s12, v4
	s_branch .LBB6_6
.LBB6_5:                                ;   in Loop: Header=BB6_6 Depth=1
	s_wait_xcnt 0x0
	s_or_b32 exec_lo, exec_lo, s7
	ds_bpermute_b32 v4, v1, v4
	v_add_nc_u32_e32 v0, 64, v0
	v_add_nc_u64_e32 v[8:9], s[2:3], v[8:9]
	s_wait_dscnt 0x0
	v_add_nc_u32_e32 v10, v4, v10
	s_delay_alu instid0(VALU_DEP_3) | instskip(SKIP_1) | instid1(SALU_CYCLE_1)
	v_cmp_le_i32_e32 vcc_lo, s14, v0
	s_or_b32 s6, vcc_lo, s6
	s_and_not1_b32 exec_lo, exec_lo, s6
	s_cbranch_execz .LBB6_8
.LBB6_6:                                ; =>This Inner Loop Header: Depth=1
	s_wait_dscnt 0x0
	s_barrier_signal -1
	s_barrier_wait -1
	global_load_b64 v[12:13], v[8:9], off
	s_wait_loadcnt 0x0
	v_cmp_gt_f64_e64 s8, |v[12:13]|, v[2:3]
	s_delay_alu instid0(VALU_DEP_1) | instskip(NEXT) | instid1(VALU_DEP_1)
	v_and_b32_e32 v4, s8, v6
	v_bcnt_u32_b32 v4, v4, 0
	s_wait_xcnt 0x0
	s_and_saveexec_b32 s7, s8
	s_cbranch_execz .LBB6_5
; %bb.7:                                ;   in Loop: Header=BB6_6 Depth=1
	v_dual_ashrrev_i32 v11, 31, v10 :: v_dual_add_nc_u32 v7, s12, v0
	s_delay_alu instid0(VALU_DEP_1) | instskip(NEXT) | instid1(VALU_DEP_1)
	v_add_nc_u64_e32 v[14:15], v[10:11], v[4:5]
	v_lshl_add_u64 v[16:17], v[14:15], 3, s[4:5]
	v_lshl_add_u64 v[14:15], v[14:15], 2, s[0:1]
	global_store_b64 v[16:17], v[12:13], off offset:-8
	global_store_b32 v[14:15], v7, off offset:-4
	s_branch .LBB6_5
.LBB6_8:
	s_endpgm
	.section	.rodata,"a",@progbits
	.p2align	6, 0x0
	.amdhsa_kernel _ZN9rocsparseL22prune_dense2csr_kernelILi8ELi64EdEEv21rocsparse_index_base_iiPKT1_lNS_24const_host_device_scalarIS2_EEPS2_PKiPib
		.amdhsa_group_segment_fixed_size 0
		.amdhsa_private_segment_fixed_size 0
		.amdhsa_kernarg_size 68
		.amdhsa_user_sgpr_count 2
		.amdhsa_user_sgpr_dispatch_ptr 0
		.amdhsa_user_sgpr_queue_ptr 0
		.amdhsa_user_sgpr_kernarg_segment_ptr 1
		.amdhsa_user_sgpr_dispatch_id 0
		.amdhsa_user_sgpr_kernarg_preload_length 0
		.amdhsa_user_sgpr_kernarg_preload_offset 0
		.amdhsa_user_sgpr_private_segment_size 0
		.amdhsa_wavefront_size32 1
		.amdhsa_uses_dynamic_stack 0
		.amdhsa_enable_private_segment 0
		.amdhsa_system_sgpr_workgroup_id_x 1
		.amdhsa_system_sgpr_workgroup_id_y 0
		.amdhsa_system_sgpr_workgroup_id_z 0
		.amdhsa_system_sgpr_workgroup_info 0
		.amdhsa_system_vgpr_workitem_id 0
		.amdhsa_next_free_vgpr 18
		.amdhsa_next_free_sgpr 15
		.amdhsa_named_barrier_count 0
		.amdhsa_reserve_vcc 1
		.amdhsa_float_round_mode_32 0
		.amdhsa_float_round_mode_16_64 0
		.amdhsa_float_denorm_mode_32 3
		.amdhsa_float_denorm_mode_16_64 3
		.amdhsa_fp16_overflow 0
		.amdhsa_memory_ordered 1
		.amdhsa_forward_progress 1
		.amdhsa_inst_pref_size 4
		.amdhsa_round_robin_scheduling 0
		.amdhsa_exception_fp_ieee_invalid_op 0
		.amdhsa_exception_fp_denorm_src 0
		.amdhsa_exception_fp_ieee_div_zero 0
		.amdhsa_exception_fp_ieee_overflow 0
		.amdhsa_exception_fp_ieee_underflow 0
		.amdhsa_exception_fp_ieee_inexact 0
		.amdhsa_exception_int_div_zero 0
	.end_amdhsa_kernel
	.section	.text._ZN9rocsparseL22prune_dense2csr_kernelILi8ELi64EdEEv21rocsparse_index_base_iiPKT1_lNS_24const_host_device_scalarIS2_EEPS2_PKiPib,"axG",@progbits,_ZN9rocsparseL22prune_dense2csr_kernelILi8ELi64EdEEv21rocsparse_index_base_iiPKT1_lNS_24const_host_device_scalarIS2_EEPS2_PKiPib,comdat
.Lfunc_end6:
	.size	_ZN9rocsparseL22prune_dense2csr_kernelILi8ELi64EdEEv21rocsparse_index_base_iiPKT1_lNS_24const_host_device_scalarIS2_EEPS2_PKiPib, .Lfunc_end6-_ZN9rocsparseL22prune_dense2csr_kernelILi8ELi64EdEEv21rocsparse_index_base_iiPKT1_lNS_24const_host_device_scalarIS2_EEPS2_PKiPib
                                        ; -- End function
	.set _ZN9rocsparseL22prune_dense2csr_kernelILi8ELi64EdEEv21rocsparse_index_base_iiPKT1_lNS_24const_host_device_scalarIS2_EEPS2_PKiPib.num_vgpr, 18
	.set _ZN9rocsparseL22prune_dense2csr_kernelILi8ELi64EdEEv21rocsparse_index_base_iiPKT1_lNS_24const_host_device_scalarIS2_EEPS2_PKiPib.num_agpr, 0
	.set _ZN9rocsparseL22prune_dense2csr_kernelILi8ELi64EdEEv21rocsparse_index_base_iiPKT1_lNS_24const_host_device_scalarIS2_EEPS2_PKiPib.numbered_sgpr, 15
	.set _ZN9rocsparseL22prune_dense2csr_kernelILi8ELi64EdEEv21rocsparse_index_base_iiPKT1_lNS_24const_host_device_scalarIS2_EEPS2_PKiPib.num_named_barrier, 0
	.set _ZN9rocsparseL22prune_dense2csr_kernelILi8ELi64EdEEv21rocsparse_index_base_iiPKT1_lNS_24const_host_device_scalarIS2_EEPS2_PKiPib.private_seg_size, 0
	.set _ZN9rocsparseL22prune_dense2csr_kernelILi8ELi64EdEEv21rocsparse_index_base_iiPKT1_lNS_24const_host_device_scalarIS2_EEPS2_PKiPib.uses_vcc, 1
	.set _ZN9rocsparseL22prune_dense2csr_kernelILi8ELi64EdEEv21rocsparse_index_base_iiPKT1_lNS_24const_host_device_scalarIS2_EEPS2_PKiPib.uses_flat_scratch, 0
	.set _ZN9rocsparseL22prune_dense2csr_kernelILi8ELi64EdEEv21rocsparse_index_base_iiPKT1_lNS_24const_host_device_scalarIS2_EEPS2_PKiPib.has_dyn_sized_stack, 0
	.set _ZN9rocsparseL22prune_dense2csr_kernelILi8ELi64EdEEv21rocsparse_index_base_iiPKT1_lNS_24const_host_device_scalarIS2_EEPS2_PKiPib.has_recursion, 0
	.set _ZN9rocsparseL22prune_dense2csr_kernelILi8ELi64EdEEv21rocsparse_index_base_iiPKT1_lNS_24const_host_device_scalarIS2_EEPS2_PKiPib.has_indirect_call, 0
	.section	.AMDGPU.csdata,"",@progbits
; Kernel info:
; codeLenInByte = 488
; TotalNumSgprs: 17
; NumVgprs: 18
; ScratchSize: 0
; MemoryBound: 0
; FloatMode: 240
; IeeeMode: 1
; LDSByteSize: 0 bytes/workgroup (compile time only)
; SGPRBlocks: 0
; VGPRBlocks: 1
; NumSGPRsForWavesPerEU: 17
; NumVGPRsForWavesPerEU: 18
; NamedBarCnt: 0
; Occupancy: 16
; WaveLimiterHint : 0
; COMPUTE_PGM_RSRC2:SCRATCH_EN: 0
; COMPUTE_PGM_RSRC2:USER_SGPR: 2
; COMPUTE_PGM_RSRC2:TRAP_HANDLER: 0
; COMPUTE_PGM_RSRC2:TGID_X_EN: 1
; COMPUTE_PGM_RSRC2:TGID_Y_EN: 0
; COMPUTE_PGM_RSRC2:TGID_Z_EN: 0
; COMPUTE_PGM_RSRC2:TIDIG_COMP_CNT: 0
	.section	.AMDGPU.gpr_maximums,"",@progbits
	.set amdgpu.max_num_vgpr, 0
	.set amdgpu.max_num_agpr, 0
	.set amdgpu.max_num_sgpr, 0
	.section	.AMDGPU.csdata,"",@progbits
	.type	__hip_cuid_f7f6824b407e0199,@object ; @__hip_cuid_f7f6824b407e0199
	.section	.bss,"aw",@nobits
	.globl	__hip_cuid_f7f6824b407e0199
__hip_cuid_f7f6824b407e0199:
	.byte	0                               ; 0x0
	.size	__hip_cuid_f7f6824b407e0199, 1

	.ident	"AMD clang version 22.0.0git (https://github.com/RadeonOpenCompute/llvm-project roc-7.2.4 26084 f58b06dce1f9c15707c5f808fd002e18c2accf7e)"
	.section	".note.GNU-stack","",@progbits
	.addrsig
	.addrsig_sym __hip_cuid_f7f6824b407e0199
	.amdgpu_metadata
---
amdhsa.kernels:
  - .args:
      - .offset:         0
        .size:           4
        .value_kind:     by_value
      - .actual_access:  read_only
        .address_space:  global
        .offset:         8
        .size:           8
        .value_kind:     global_buffer
      - .actual_access:  write_only
        .address_space:  global
        .offset:         16
        .size:           8
        .value_kind:     global_buffer
    .group_segment_fixed_size: 0
    .kernarg_segment_align: 8
    .kernarg_segment_size: 24
    .language:       OpenCL C
    .language_version:
      - 2
      - 0
    .max_flat_workgroup_size: 1
    .name:           _ZN9rocsparseL23nnz_total_device_kernelEiPKiPi
    .private_segment_fixed_size: 0
    .sgpr_count:     8
    .sgpr_spill_count: 0
    .symbol:         _ZN9rocsparseL23nnz_total_device_kernelEiPKiPi.kd
    .uniform_work_group_size: 1
    .uses_dynamic_stack: false
    .vgpr_count:     2
    .vgpr_spill_count: 0
    .wavefront_size: 32
  - .args:
      - .offset:         0
        .size:           4
        .value_kind:     by_value
      - .offset:         4
        .size:           4
        .value_kind:     by_value
      - .actual_access:  read_only
        .address_space:  global
        .offset:         8
        .size:           8
        .value_kind:     global_buffer
      - .offset:         16
        .size:           8
        .value_kind:     by_value
      - .offset:         24
        .size:           8
        .value_kind:     by_value
      - .actual_access:  write_only
        .address_space:  global
        .offset:         32
        .size:           8
        .value_kind:     global_buffer
      - .offset:         40
        .size:           1
        .value_kind:     by_value
      - .offset:         48
        .size:           4
        .value_kind:     hidden_block_count_x
      - .offset:         52
        .size:           4
        .value_kind:     hidden_block_count_y
      - .offset:         56
        .size:           4
        .value_kind:     hidden_block_count_z
      - .offset:         60
        .size:           2
        .value_kind:     hidden_group_size_x
      - .offset:         62
        .size:           2
        .value_kind:     hidden_group_size_y
      - .offset:         64
        .size:           2
        .value_kind:     hidden_group_size_z
      - .offset:         66
        .size:           2
        .value_kind:     hidden_remainder_x
      - .offset:         68
        .size:           2
        .value_kind:     hidden_remainder_y
      - .offset:         70
        .size:           2
        .value_kind:     hidden_remainder_z
      - .offset:         88
        .size:           8
        .value_kind:     hidden_global_offset_x
      - .offset:         96
        .size:           8
        .value_kind:     hidden_global_offset_y
      - .offset:         104
        .size:           8
        .value_kind:     hidden_global_offset_z
      - .offset:         112
        .size:           2
        .value_kind:     hidden_grid_dims
    .group_segment_fixed_size: 16384
    .kernarg_segment_align: 8
    .kernarg_segment_size: 304
    .language:       OpenCL C
    .language_version:
      - 2
      - 0
    .max_flat_workgroup_size: 1024
    .name:           _ZN9rocsparseL26prune_dense2csr_nnz_kernelILi64ELi16EfEEviiPKT1_lNS_24const_host_device_scalarIS1_EEPib
    .private_segment_fixed_size: 0
    .sgpr_count:     22
    .sgpr_spill_count: 0
    .symbol:         _ZN9rocsparseL26prune_dense2csr_nnz_kernelILi64ELi16EfEEviiPKT1_lNS_24const_host_device_scalarIS1_EEPib.kd
    .uniform_work_group_size: 1
    .uses_dynamic_stack: false
    .vgpr_count:     33
    .vgpr_spill_count: 0
    .wavefront_size: 32
  - .args:
      - .offset:         0
        .size:           4
        .value_kind:     by_value
      - .offset:         4
        .size:           4
        .value_kind:     by_value
      - .actual_access:  read_only
        .address_space:  global
        .offset:         8
        .size:           8
        .value_kind:     global_buffer
      - .offset:         16
        .size:           8
        .value_kind:     by_value
      - .offset:         24
        .size:           8
        .value_kind:     by_value
      - .actual_access:  write_only
        .address_space:  global
        .offset:         32
        .size:           8
        .value_kind:     global_buffer
      - .offset:         40
        .size:           1
        .value_kind:     by_value
      - .offset:         48
        .size:           4
        .value_kind:     hidden_block_count_x
      - .offset:         52
        .size:           4
        .value_kind:     hidden_block_count_y
      - .offset:         56
        .size:           4
        .value_kind:     hidden_block_count_z
      - .offset:         60
        .size:           2
        .value_kind:     hidden_group_size_x
      - .offset:         62
        .size:           2
        .value_kind:     hidden_group_size_y
      - .offset:         64
        .size:           2
        .value_kind:     hidden_group_size_z
      - .offset:         66
        .size:           2
        .value_kind:     hidden_remainder_x
      - .offset:         68
        .size:           2
        .value_kind:     hidden_remainder_y
      - .offset:         70
        .size:           2
        .value_kind:     hidden_remainder_z
      - .offset:         88
        .size:           8
        .value_kind:     hidden_global_offset_x
      - .offset:         96
        .size:           8
        .value_kind:     hidden_global_offset_y
      - .offset:         104
        .size:           8
        .value_kind:     hidden_global_offset_z
      - .offset:         112
        .size:           2
        .value_kind:     hidden_grid_dims
    .group_segment_fixed_size: 16384
    .kernarg_segment_align: 8
    .kernarg_segment_size: 304
    .language:       OpenCL C
    .language_version:
      - 2
      - 0
    .max_flat_workgroup_size: 1024
    .name:           _ZN9rocsparseL26prune_dense2csr_nnz_kernelILi64ELi16EdEEviiPKT1_lNS_24const_host_device_scalarIS1_EEPib
    .private_segment_fixed_size: 0
    .sgpr_count:     21
    .sgpr_spill_count: 0
    .symbol:         _ZN9rocsparseL26prune_dense2csr_nnz_kernelILi64ELi16EdEEviiPKT1_lNS_24const_host_device_scalarIS1_EEPib.kd
    .uniform_work_group_size: 1
    .uses_dynamic_stack: false
    .vgpr_count:     42
    .vgpr_spill_count: 0
    .wavefront_size: 32
  - .args:
      - .offset:         0
        .size:           4
        .value_kind:     by_value
      - .offset:         4
        .size:           4
        .value_kind:     by_value
      - .offset:         8
        .size:           4
        .value_kind:     by_value
      - .actual_access:  read_only
        .address_space:  global
        .offset:         16
        .size:           8
        .value_kind:     global_buffer
      - .offset:         24
        .size:           8
        .value_kind:     by_value
      - .offset:         32
        .size:           8
        .value_kind:     by_value
      - .actual_access:  write_only
        .address_space:  global
        .offset:         40
        .size:           8
        .value_kind:     global_buffer
      - .actual_access:  read_only
        .address_space:  global
        .offset:         48
        .size:           8
        .value_kind:     global_buffer
      - .actual_access:  write_only
        .address_space:  global
        .offset:         56
        .size:           8
        .value_kind:     global_buffer
      - .offset:         64
        .size:           1
        .value_kind:     by_value
    .group_segment_fixed_size: 0
    .kernarg_segment_align: 8
    .kernarg_segment_size: 68
    .language:       OpenCL C
    .language_version:
      - 2
      - 0
    .max_flat_workgroup_size: 512
    .name:           _ZN9rocsparseL22prune_dense2csr_kernelILi16ELi32EfEEv21rocsparse_index_base_iiPKT1_lNS_24const_host_device_scalarIS2_EEPS2_PKiPib
    .private_segment_fixed_size: 0
    .sgpr_count:     17
    .sgpr_spill_count: 0
    .symbol:         _ZN9rocsparseL22prune_dense2csr_kernelILi16ELi32EfEEv21rocsparse_index_base_iiPKT1_lNS_24const_host_device_scalarIS2_EEPS2_PKiPib.kd
    .uniform_work_group_size: 1
    .uses_dynamic_stack: false
    .vgpr_count:     14
    .vgpr_spill_count: 0
    .wavefront_size: 32
  - .args:
      - .offset:         0
        .size:           4
        .value_kind:     by_value
      - .offset:         4
        .size:           4
        .value_kind:     by_value
      - .offset:         8
        .size:           4
        .value_kind:     by_value
      - .actual_access:  read_only
        .address_space:  global
        .offset:         16
        .size:           8
        .value_kind:     global_buffer
      - .offset:         24
        .size:           8
        .value_kind:     by_value
      - .offset:         32
        .size:           8
        .value_kind:     by_value
      - .actual_access:  write_only
        .address_space:  global
        .offset:         40
        .size:           8
        .value_kind:     global_buffer
      - .actual_access:  read_only
        .address_space:  global
        .offset:         48
        .size:           8
        .value_kind:     global_buffer
      - .actual_access:  write_only
        .address_space:  global
        .offset:         56
        .size:           8
        .value_kind:     global_buffer
      - .offset:         64
        .size:           1
        .value_kind:     by_value
    .group_segment_fixed_size: 0
    .kernarg_segment_align: 8
    .kernarg_segment_size: 68
    .language:       OpenCL C
    .language_version:
      - 2
      - 0
    .max_flat_workgroup_size: 1024
    .name:           _ZN9rocsparseL22prune_dense2csr_kernelILi16ELi64EfEEv21rocsparse_index_base_iiPKT1_lNS_24const_host_device_scalarIS2_EEPS2_PKiPib
    .private_segment_fixed_size: 0
    .sgpr_count:     17
    .sgpr_spill_count: 0
    .symbol:         _ZN9rocsparseL22prune_dense2csr_kernelILi16ELi64EfEEv21rocsparse_index_base_iiPKT1_lNS_24const_host_device_scalarIS2_EEPS2_PKiPib.kd
    .uniform_work_group_size: 1
    .uses_dynamic_stack: false
    .vgpr_count:     14
    .vgpr_spill_count: 0
    .wavefront_size: 32
  - .args:
      - .offset:         0
        .size:           4
        .value_kind:     by_value
      - .offset:         4
        .size:           4
        .value_kind:     by_value
      - .offset:         8
        .size:           4
        .value_kind:     by_value
      - .actual_access:  read_only
        .address_space:  global
        .offset:         16
        .size:           8
        .value_kind:     global_buffer
      - .offset:         24
        .size:           8
        .value_kind:     by_value
      - .offset:         32
        .size:           8
        .value_kind:     by_value
      - .actual_access:  write_only
        .address_space:  global
        .offset:         40
        .size:           8
        .value_kind:     global_buffer
      - .actual_access:  read_only
        .address_space:  global
        .offset:         48
        .size:           8
        .value_kind:     global_buffer
      - .actual_access:  write_only
        .address_space:  global
        .offset:         56
        .size:           8
        .value_kind:     global_buffer
      - .offset:         64
        .size:           1
        .value_kind:     by_value
    .group_segment_fixed_size: 0
    .kernarg_segment_align: 8
    .kernarg_segment_size: 68
    .language:       OpenCL C
    .language_version:
      - 2
      - 0
    .max_flat_workgroup_size: 256
    .name:           _ZN9rocsparseL22prune_dense2csr_kernelILi8ELi32EdEEv21rocsparse_index_base_iiPKT1_lNS_24const_host_device_scalarIS2_EEPS2_PKiPib
    .private_segment_fixed_size: 0
    .sgpr_count:     17
    .sgpr_spill_count: 0
    .symbol:         _ZN9rocsparseL22prune_dense2csr_kernelILi8ELi32EdEEv21rocsparse_index_base_iiPKT1_lNS_24const_host_device_scalarIS2_EEPS2_PKiPib.kd
    .uniform_work_group_size: 1
    .uses_dynamic_stack: false
    .vgpr_count:     18
    .vgpr_spill_count: 0
    .wavefront_size: 32
  - .args:
      - .offset:         0
        .size:           4
        .value_kind:     by_value
      - .offset:         4
        .size:           4
        .value_kind:     by_value
      - .offset:         8
        .size:           4
        .value_kind:     by_value
      - .actual_access:  read_only
        .address_space:  global
        .offset:         16
        .size:           8
        .value_kind:     global_buffer
      - .offset:         24
        .size:           8
        .value_kind:     by_value
      - .offset:         32
        .size:           8
        .value_kind:     by_value
      - .actual_access:  write_only
        .address_space:  global
        .offset:         40
        .size:           8
        .value_kind:     global_buffer
      - .actual_access:  read_only
        .address_space:  global
        .offset:         48
        .size:           8
        .value_kind:     global_buffer
      - .actual_access:  write_only
        .address_space:  global
        .offset:         56
        .size:           8
        .value_kind:     global_buffer
      - .offset:         64
        .size:           1
        .value_kind:     by_value
    .group_segment_fixed_size: 0
    .kernarg_segment_align: 8
    .kernarg_segment_size: 68
    .language:       OpenCL C
    .language_version:
      - 2
      - 0
    .max_flat_workgroup_size: 512
    .name:           _ZN9rocsparseL22prune_dense2csr_kernelILi8ELi64EdEEv21rocsparse_index_base_iiPKT1_lNS_24const_host_device_scalarIS2_EEPS2_PKiPib
    .private_segment_fixed_size: 0
    .sgpr_count:     17
    .sgpr_spill_count: 0
    .symbol:         _ZN9rocsparseL22prune_dense2csr_kernelILi8ELi64EdEEv21rocsparse_index_base_iiPKT1_lNS_24const_host_device_scalarIS2_EEPS2_PKiPib.kd
    .uniform_work_group_size: 1
    .uses_dynamic_stack: false
    .vgpr_count:     18
    .vgpr_spill_count: 0
    .wavefront_size: 32
amdhsa.target:   amdgcn-amd-amdhsa--gfx1250
amdhsa.version:
  - 1
  - 2
...

	.end_amdgpu_metadata
